;; amdgpu-corpus repo=ROCm/rocFFT kind=compiled arch=gfx1030 opt=O3
	.text
	.amdgcn_target "amdgcn-amd-amdhsa--gfx1030"
	.amdhsa_code_object_version 6
	.protected	bluestein_single_back_len468_dim1_sp_op_CI_CI ; -- Begin function bluestein_single_back_len468_dim1_sp_op_CI_CI
	.globl	bluestein_single_back_len468_dim1_sp_op_CI_CI
	.p2align	8
	.type	bluestein_single_back_len468_dim1_sp_op_CI_CI,@function
bluestein_single_back_len468_dim1_sp_op_CI_CI: ; @bluestein_single_back_len468_dim1_sp_op_CI_CI
; %bb.0:
	s_load_dwordx4 s[0:3], s[4:5], 0x28
	v_mul_u32_u24_e32 v1, 0x4ed, v0
	v_mov_b32_e32 v61, 0
	v_lshrrev_b32_e32 v1, 16, v1
	v_add_nc_u32_e32 v60, s6, v1
	s_waitcnt lgkmcnt(0)
	v_cmp_gt_u64_e32 vcc_lo, s[0:1], v[60:61]
	s_and_saveexec_b32 s0, vcc_lo
	s_cbranch_execz .LBB0_23
; %bb.1:
	s_clause 0x1
	s_load_dwordx2 s[14:15], s[4:5], 0x0
	s_load_dwordx2 s[12:13], s[4:5], 0x38
	v_mul_lo_u16 v1, v1, 52
	v_sub_nc_u16 v0, v0, v1
	v_and_b32_e32 v70, 0xffff, v0
	v_cmp_gt_u16_e32 vcc_lo, 36, v0
	v_lshlrev_b32_e32 v69, 3, v70
	s_and_saveexec_b32 s1, vcc_lo
	s_cbranch_execz .LBB0_3
; %bb.2:
	s_load_dwordx2 s[6:7], s[4:5], 0x18
	s_waitcnt lgkmcnt(0)
	v_add_co_u32 v20, s0, s14, v69
	v_add_co_ci_u32_e64 v21, null, s15, 0, s0
	v_add_nc_u32_e32 v54, 0x800, v69
	s_load_dwordx4 s[8:11], s[6:7], 0x0
	s_waitcnt lgkmcnt(0)
	v_mad_u64_u32 v[0:1], null, s10, v60, 0
	v_mad_u64_u32 v[2:3], null, s8, v70, 0
	s_mul_i32 s6, s9, 0x120
	s_mul_hi_u32 s7, s8, 0x120
	s_add_i32 s7, s7, s6
	v_mad_u64_u32 v[4:5], null, s11, v60, v[1:2]
	v_mad_u64_u32 v[5:6], null, s9, v70, v[3:4]
	v_mov_b32_e32 v1, v4
	s_clause 0x3
	global_load_dwordx2 v[6:7], v69, s[14:15]
	global_load_dwordx2 v[8:9], v69, s[14:15] offset:288
	global_load_dwordx2 v[10:11], v69, s[14:15] offset:576
	;; [unrolled: 1-line block ×3, first 2 shown]
	v_lshlrev_b64 v[0:1], 3, v[0:1]
	v_mov_b32_e32 v3, v5
	s_clause 0x3
	global_load_dwordx2 v[4:5], v69, s[14:15] offset:1152
	global_load_dwordx2 v[14:15], v69, s[14:15] offset:1440
	;; [unrolled: 1-line block ×4, first 2 shown]
	v_add_co_u32 v0, s0, s2, v0
	v_lshlrev_b64 v[2:3], 3, v[2:3]
	v_add_co_ci_u32_e64 v1, s0, s3, v1, s0
	s_mul_i32 s2, s8, 0x120
	v_add_co_u32 v0, s0, v0, v2
	v_add_co_ci_u32_e64 v1, s0, v1, v3, s0
	v_add_co_u32 v2, s0, v0, s2
	v_add_co_ci_u32_e64 v3, s0, s7, v1, s0
	;; [unrolled: 2-line block ×4, first 2 shown]
	s_clause 0x2
	global_load_dwordx2 v[24:25], v[20:21], off offset:256
	global_load_dwordx2 v[26:27], v[20:21], off offset:544
	;; [unrolled: 1-line block ×3, first 2 shown]
	v_add_co_u32 v30, s0, v22, s2
	v_add_co_ci_u32_e64 v31, s0, s7, v23, s0
	global_load_dwordx2 v[0:1], v[0:1], off
	v_add_co_u32 v32, s0, v30, s2
	v_add_co_ci_u32_e64 v33, s0, s7, v31, s0
	s_clause 0x2
	global_load_dwordx2 v[2:3], v[2:3], off
	global_load_dwordx2 v[22:23], v[22:23], off
	;; [unrolled: 1-line block ×3, first 2 shown]
	v_add_co_u32 v34, s0, v32, s2
	v_add_co_ci_u32_e64 v35, s0, s7, v33, s0
	global_load_dwordx2 v[32:33], v[32:33], off
	v_add_co_u32 v36, s0, v34, s2
	v_add_co_ci_u32_e64 v37, s0, s7, v35, s0
	global_load_dwordx2 v[34:35], v[34:35], off
	;; [unrolled: 3-line block ×7, first 2 shown]
	v_add_co_u32 v48, s0, v46, s2
	v_add_co_ci_u32_e64 v49, s0, s7, v47, s0
	global_load_dwordx2 v[50:51], v[20:21], off offset:1120
	global_load_dwordx2 v[46:47], v[46:47], off
	global_load_dwordx2 v[20:21], v[20:21], off offset:1408
	global_load_dwordx2 v[48:49], v[48:49], off
	s_waitcnt vmcnt(14)
	v_mul_f32_e32 v52, v1, v7
	v_mul_f32_e32 v53, v0, v7
	s_waitcnt vmcnt(13)
	v_mul_f32_e32 v7, v3, v9
	v_fmac_f32_e32 v52, v0, v6
	v_fma_f32 v53, v1, v6, -v53
	v_mul_f32_e32 v1, v2, v9
	v_fmac_f32_e32 v7, v2, v8
	s_waitcnt vmcnt(12)
	v_mul_f32_e32 v0, v23, v11
	v_mul_f32_e32 v6, v22, v11
	s_waitcnt vmcnt(11)
	v_mul_f32_e32 v2, v31, v13
	v_mul_f32_e32 v9, v30, v13
	v_fma_f32 v8, v3, v8, -v1
	v_fmac_f32_e32 v0, v22, v10
	v_fma_f32 v1, v23, v10, -v6
	v_fmac_f32_e32 v2, v30, v12
	v_fma_f32 v3, v31, v12, -v9
	s_waitcnt vmcnt(10)
	v_mul_f32_e32 v6, v33, v5
	v_mul_f32_e32 v5, v32, v5
	ds_write2_b64 v69, v[52:53], v[7:8] offset1:36
	s_waitcnt vmcnt(9)
	v_mul_f32_e32 v8, v35, v15
	ds_write2_b64 v69, v[0:1], v[2:3] offset0:72 offset1:108
	v_mul_f32_e32 v1, v34, v15
	v_fma_f32 v7, v33, v4, -v5
	s_waitcnt vmcnt(8)
	v_mul_f32_e32 v3, v36, v17
	s_waitcnt vmcnt(7)
	v_mul_f32_e32 v5, v38, v19
	v_mul_f32_e32 v0, v37, v17
	;; [unrolled: 1-line block ×3, first 2 shown]
	v_fmac_f32_e32 v6, v32, v4
	v_fma_f32 v9, v35, v14, -v1
	v_fma_f32 v1, v37, v16, -v3
	s_waitcnt vmcnt(6)
	v_mul_f32_e32 v4, v41, v25
	v_fma_f32 v3, v39, v18, -v5
	v_mul_f32_e32 v5, v40, v25
	s_waitcnt vmcnt(5)
	v_mul_f32_e32 v10, v43, v27
	v_mul_f32_e32 v11, v42, v27
	v_fmac_f32_e32 v8, v34, v14
	v_fmac_f32_e32 v0, v36, v16
	;; [unrolled: 1-line block ×3, first 2 shown]
	s_waitcnt vmcnt(4)
	v_mul_f32_e32 v12, v45, v29
	v_mul_f32_e32 v13, v44, v29
	v_fmac_f32_e32 v4, v40, v24
	s_waitcnt vmcnt(2)
	v_mul_f32_e32 v14, v47, v51
	v_mul_f32_e32 v15, v46, v51
	s_waitcnt vmcnt(0)
	v_mul_f32_e32 v16, v49, v21
	v_mul_f32_e32 v17, v48, v21
	v_fma_f32 v5, v41, v24, -v5
	v_fmac_f32_e32 v10, v42, v26
	v_fma_f32 v11, v43, v26, -v11
	v_fmac_f32_e32 v12, v44, v28
	;; [unrolled: 2-line block ×4, first 2 shown]
	v_fma_f32 v17, v49, v20, -v17
	ds_write2_b64 v69, v[6:7], v[8:9] offset0:144 offset1:180
	ds_write2_b64 v69, v[0:1], v[2:3] offset0:216 offset1:252
	;; [unrolled: 1-line block ×4, first 2 shown]
	ds_write_b64 v69, v[16:17] offset:3456
.LBB0_3:
	s_or_b32 exec_lo, exec_lo, s1
	s_clause 0x1
	s_load_dwordx2 s[0:1], s[4:5], 0x20
	s_load_dwordx2 s[2:3], s[4:5], 0x8
	v_mov_b32_e32 v4, 0
	v_mov_b32_e32 v5, 0
	s_waitcnt lgkmcnt(0)
	s_barrier
	buffer_gl0_inv
                                        ; implicit-def: $vgpr14
                                        ; implicit-def: $vgpr2
                                        ; implicit-def: $vgpr24
                                        ; implicit-def: $vgpr10
                                        ; implicit-def: $vgpr18
                                        ; implicit-def: $vgpr22
	s_and_saveexec_b32 s4, vcc_lo
	s_cbranch_execz .LBB0_5
; %bb.4:
	v_add_nc_u32_e32 v0, 0x800, v69
	ds_read2_b64 v[4:7], v69 offset1:36
	ds_read2_b64 v[20:23], v69 offset0:72 offset1:108
	ds_read2_b64 v[16:19], v69 offset0:144 offset1:180
	;; [unrolled: 1-line block ×5, first 2 shown]
	ds_read_b64 v[24:25], v69 offset:3456
.LBB0_5:
	s_or_b32 exec_lo, exec_lo, s4
	s_waitcnt lgkmcnt(0)
	v_sub_f32_e32 v65, v7, v25
	v_sub_f32_e32 v76, v6, v24
	v_add_f32_e32 v26, v24, v6
	v_sub_f32_e32 v75, v21, v3
	v_add_f32_e32 v27, v25, v7
	v_mul_f32_e32 v38, 0xbeedf032, v65
	v_mul_f32_e32 v42, 0xbeedf032, v76
	v_add_f32_e32 v32, v2, v20
	v_sub_f32_e32 v78, v20, v2
	v_mul_f32_e32 v41, 0xbf52af12, v75
	v_fmamk_f32 v28, v26, 0x3f62ad3f, v38
	v_sub_f32_e32 v77, v23, v1
	v_fma_f32 v29, 0x3f62ad3f, v27, -v42
	v_add_f32_e32 v33, v3, v21
	v_mul_f32_e32 v43, 0xbf52af12, v78
	v_add_f32_e32 v28, v28, v4
	v_fmamk_f32 v30, v32, 0x3f116cb1, v41
	v_sub_f32_e32 v81, v22, v0
	v_add_f32_e32 v36, v0, v22
	v_mul_f32_e32 v45, 0xbf7e222b, v77
	v_sub_f32_e32 v80, v17, v11
	v_add_f32_e32 v29, v29, v5
	v_fma_f32 v31, 0x3f116cb1, v33, -v43
	v_add_f32_e32 v28, v30, v28
	v_add_f32_e32 v37, v1, v23
	v_mul_f32_e32 v47, 0xbf7e222b, v81
	v_fmamk_f32 v30, v36, 0x3df6dbef, v45
	v_sub_f32_e32 v85, v16, v10
	v_add_f32_e32 v39, v10, v16
	v_mul_f32_e32 v49, 0xbf6f5d39, v80
	v_sub_f32_e32 v82, v19, v9
	v_add_f32_e32 v29, v31, v29
	v_fma_f32 v31, 0x3df6dbef, v37, -v47
	v_add_f32_e32 v40, v11, v17
	v_mul_f32_e32 v50, 0xbf6f5d39, v85
	v_add_f32_e32 v28, v30, v28
	v_fmamk_f32 v30, v39, 0xbeb58ec6, v49
	v_sub_f32_e32 v90, v18, v8
	v_add_f32_e32 v44, v8, v18
	v_mul_f32_e32 v52, 0xbf29c268, v82
	v_sub_f32_e32 v88, v13, v15
	v_add_f32_e32 v29, v31, v29
	v_fma_f32 v31, 0xbeb58ec6, v40, -v50
	v_add_f32_e32 v46, v9, v19
	v_mul_f32_e32 v53, 0xbf29c268, v90
	v_add_f32_e32 v28, v30, v28
	v_fmamk_f32 v30, v44, 0xbf3f9e67, v52
	v_add_f32_e32 v48, v14, v12
	v_mul_f32_e32 v54, 0xbe750f2a, v88
	v_add_f32_e32 v29, v31, v29
	v_fma_f32 v31, 0xbf3f9e67, v46, -v53
	v_add_f32_e32 v28, v30, v28
	v_mul_f32_e32 v57, 0xbf52af12, v65
	v_fmamk_f32 v30, v48, 0xbf788fa5, v54
	v_mul_f32_e32 v68, 0xbf52af12, v76
	v_add_f32_e32 v29, v31, v29
	v_mul_f32_e32 v58, 0xbf6f5d39, v75
	v_mul_f32_e32 v73, 0xbf6f5d39, v78
	v_add_f32_e32 v61, v30, v28
	v_fmamk_f32 v28, v26, 0x3f116cb1, v57
	v_fma_f32 v31, 0x3f116cb1, v27, -v68
	v_sub_f32_e32 v91, v12, v14
	v_fmamk_f32 v34, v32, 0xbeb58ec6, v58
	v_mul_f32_e32 v59, 0xbe750f2a, v77
	v_add_f32_e32 v28, v28, v4
	v_add_f32_e32 v31, v31, v5
	v_fma_f32 v35, 0xbeb58ec6, v33, -v73
	v_mul_f32_e32 v74, 0xbe750f2a, v81
	v_add_f32_e32 v51, v15, v13
	v_mul_f32_e32 v55, 0xbe750f2a, v91
	v_add_f32_e32 v28, v34, v28
	v_fmamk_f32 v34, v36, 0xbf788fa5, v59
	v_mul_f32_e32 v63, 0x3f29c268, v80
	v_add_f32_e32 v31, v35, v31
	v_fma_f32 v35, 0xbf788fa5, v37, -v74
	v_mul_f32_e32 v66, 0x3f29c268, v85
	v_fma_f32 v30, 0xbf788fa5, v51, -v55
	v_add_f32_e32 v28, v34, v28
	v_fmamk_f32 v34, v39, 0xbf3f9e67, v63
	v_mul_f32_e32 v64, 0x3f7e222b, v82
	v_add_f32_e32 v31, v35, v31
	v_fma_f32 v35, 0xbf3f9e67, v40, -v66
	v_mul_f32_e32 v67, 0x3f7e222b, v90
	v_add_f32_e32 v28, v34, v28
	v_fmamk_f32 v34, v44, 0x3df6dbef, v64
	v_add_f32_e32 v62, v30, v29
	v_add_f32_e32 v29, v35, v31
	v_fma_f32 v30, 0x3df6dbef, v46, -v67
	v_mul_f32_e32 v83, 0xbf7e222b, v65
	v_mul_f32_e32 v56, 0x3eedf032, v88
	v_add_f32_e32 v28, v34, v28
	v_mul_f32_e32 v84, 0xbe750f2a, v75
	v_add_f32_e32 v29, v30, v29
	v_fmamk_f32 v30, v26, 0x3df6dbef, v83
	v_fmamk_f32 v31, v48, 0x3f62ad3f, v56
	v_mul_f32_e32 v93, 0xbf7e222b, v76
	v_fmamk_f32 v71, v32, 0xbf788fa5, v84
	v_mul_f32_e32 v89, 0x3f6f5d39, v77
	v_add_f32_e32 v35, v30, v4
	v_add_f32_e32 v30, v31, v28
	v_fma_f32 v28, 0x3df6dbef, v27, -v93
	v_mul_f32_e32 v95, 0xbe750f2a, v78
	v_mul_f32_e32 v87, 0x3eedf032, v80
	v_add_f32_e32 v31, v71, v35
	v_fmamk_f32 v35, v36, 0xbeb58ec6, v89
	v_add_f32_e32 v28, v28, v5
	v_fma_f32 v71, 0xbf788fa5, v33, -v95
	v_mul_f32_e32 v94, 0x3f6f5d39, v81
	v_mul_f32_e32 v86, 0xbf52af12, v82
	v_add_f32_e32 v31, v35, v31
	v_fmamk_f32 v35, v39, 0x3f62ad3f, v87
	;; [unrolled: 6-line block ×5, first 2 shown]
	v_add_f32_e32 v71, v71, v5
	v_fma_f32 v99, 0xbf3f9e67, v33, -v109
	v_mul_f32_e32 v101, 0x3eedf032, v77
	v_mul_f32_e32 v105, 0x3eedf032, v81
	v_fma_f32 v102, 0x3f116cb1, v46, -v97
	v_add_f32_e32 v31, v96, v31
	v_add_f32_e32 v71, v99, v71
	v_fmamk_f32 v96, v36, 0x3f62ad3f, v101
	v_fma_f32 v99, 0x3f62ad3f, v37, -v105
	v_mul_f32_e32 v103, 0xbf7e222b, v80
	v_mul_f32_e32 v106, 0xbf7e222b, v85
	v_add_f32_e32 v111, v102, v28
	v_add_f32_e32 v28, v96, v31
	;; [unrolled: 1-line block ×3, first 2 shown]
	v_fmamk_f32 v71, v39, 0x3df6dbef, v103
	v_fma_f32 v102, 0x3df6dbef, v40, -v106
	v_mul_f32_e32 v99, 0x3e750f2a, v82
	v_mul_f32_e32 v107, 0x3e750f2a, v90
	;; [unrolled: 1-line block ×5, first 2 shown]
	v_add_f32_e32 v28, v71, v28
	v_add_f32_e32 v31, v102, v31
	v_fmamk_f32 v71, v44, 0xbf788fa5, v99
	v_fma_f32 v112, 0xbf788fa5, v46, -v107
	v_mul_f32_e32 v102, 0x3f52af12, v88
	v_mul_f32_e32 v104, 0x3f52af12, v91
	v_fma_f32 v34, 0x3f62ad3f, v51, -v72
	v_fmamk_f32 v110, v48, 0xbf3f9e67, v79
	v_fma_f32 v113, 0xbf3f9e67, v51, -v96
	v_add_f32_e32 v71, v71, v28
	v_add_f32_e32 v112, v112, v31
	v_fmamk_f32 v114, v48, 0x3f116cb1, v102
	v_fma_f32 v115, 0x3f116cb1, v51, -v104
	v_add_f32_e32 v31, v34, v29
	v_add_f32_e32 v28, v110, v35
	;; [unrolled: 1-line block ×5, first 2 shown]
	v_mul_lo_u16 v71, v70, 13
	s_barrier
	buffer_gl0_inv
	s_and_saveexec_b32 s4, vcc_lo
	s_cbranch_execz .LBB0_7
; %bb.6:
	v_mul_f32_e32 v110, 0xbe750f2a, v76
	v_mul_f32_e32 v111, 0x3eedf032, v78
	;; [unrolled: 1-line block ×5, first 2 shown]
	v_fmamk_f32 v115, v27, 0xbf788fa5, v110
	v_fmamk_f32 v119, v33, 0x3f62ad3f, v111
	v_fma_f32 v117, 0xbf788fa5, v26, -v112
	v_mul_f32_e32 v116, 0xbf29c268, v77
	v_fma_f32 v120, 0x3f62ad3f, v32, -v113
	v_add_f32_e32 v115, v115, v5
	v_fmamk_f32 v122, v37, 0xbf3f9e67, v114
	v_add_f32_e32 v117, v117, v4
	v_mul_f32_e32 v118, 0x3f52af12, v85
	v_mul_f32_e32 v121, 0x3f52af12, v80
	v_add_f32_e32 v115, v119, v115
	v_fma_f32 v119, 0xbf3f9e67, v36, -v116
	v_add_f32_e32 v117, v120, v117
	v_fmamk_f32 v120, v40, 0x3f116cb1, v118
	v_fma_f32 v123, 0x3f116cb1, v39, -v121
	v_add_f32_e32 v115, v122, v115
	v_mul_f32_e32 v122, 0xbf3f9e67, v27
	v_add_f32_e32 v117, v119, v117
	v_mul_f32_e32 v119, 0xbf6f5d39, v90
	v_mul_f32_e32 v124, 0x3df6dbef, v33
	v_add_f32_e32 v115, v120, v115
	v_fmamk_f32 v125, v76, 0x3f29c268, v122
	v_fmac_f32_e32 v122, 0xbf29c268, v76
	v_add_f32_e32 v117, v123, v117
	v_fmamk_f32 v123, v46, 0xbeb58ec6, v119
	v_fmamk_f32 v127, v78, 0xbf7e222b, v124
	v_fmac_f32_e32 v124, 0x3f7e222b, v78
	v_add_f32_e32 v78, v122, v5
	v_mul_f32_e32 v122, 0x3f116cb1, v37
	v_add_f32_e32 v115, v123, v115
	v_mul_f32_e32 v65, 0xbf29c268, v65
	v_mul_f32_e32 v120, 0xbf6f5d39, v82
	v_add_f32_e32 v78, v124, v78
	v_fmamk_f32 v123, v81, 0x3f52af12, v122
	v_fmac_f32_e32 v122, 0xbf52af12, v81
	v_mul_f32_e32 v81, 0xbf788fa5, v40
	v_mul_f32_e32 v124, 0x3f7e222b, v75
	v_fma_f32 v76, 0xbeb58ec6, v44, -v120
	v_mul_f32_e32 v126, 0x3f7e222b, v91
	v_add_f32_e32 v78, v122, v78
	v_fmamk_f32 v122, v85, 0xbe750f2a, v81
	v_fmac_f32_e32 v81, 0x3e750f2a, v85
	v_fma_f32 v85, 0xbf3f9e67, v26, -v65
	v_mul_f32_e32 v128, 0x3f62ad3f, v46
	v_mul_f32_e32 v129, 0xbf52af12, v77
	v_add_f32_e32 v117, v76, v117
	v_add_f32_e32 v78, v81, v78
	;; [unrolled: 1-line block ×3, first 2 shown]
	v_fma_f32 v85, 0x3df6dbef, v32, -v124
	v_fmamk_f32 v76, v51, 0x3df6dbef, v126
	v_fmamk_f32 v130, v90, 0xbeedf032, v128
	v_fmac_f32_e32 v128, 0x3eedf032, v90
	v_mul_f32_e32 v90, 0x3e750f2a, v80
	v_add_f32_e32 v81, v85, v81
	v_fma_f32 v85, 0x3f116cb1, v36, -v129
	v_add_f32_e32 v76, v76, v115
	v_mul_f32_e32 v115, 0x3f7e222b, v88
	v_mul_f32_e32 v82, 0x3eedf032, v82
	v_mul_f32_e32 v77, 0xbeb58ec6, v51
	v_add_f32_e32 v80, v85, v81
	v_mul_f32_e32 v81, 0xbeb58ec6, v27
	v_fma_f32 v85, 0xbf788fa5, v39, -v90
	v_fma_f32 v75, 0x3df6dbef, v48, -v115
	v_add_f32_e32 v78, v128, v78
	v_mul_f32_e32 v128, 0xbf3f9e67, v33
	v_add_f32_e32 v81, v108, v81
	v_add_f32_e32 v80, v85, v80
	v_fma_f32 v85, 0x3f62ad3f, v44, -v82
	v_mul_f32_e32 v108, 0xbeb58ec6, v26
	v_add_f32_e32 v75, v75, v117
	v_fmamk_f32 v117, v91, 0x3f6f5d39, v77
	v_fmac_f32_e32 v77, 0xbf6f5d39, v91
	v_add_f32_e32 v91, v109, v128
	v_add_f32_e32 v81, v81, v5
	v_mul_f32_e32 v109, 0x3f62ad3f, v37
	v_add_f32_e32 v80, v85, v80
	v_mul_f32_e32 v85, 0xbf3f9e67, v32
	v_sub_f32_e32 v98, v108, v98
	v_add_f32_e32 v81, v91, v81
	v_add_f32_e32 v91, v105, v109
	v_mul_f32_e32 v105, 0x3df6dbef, v40
	v_sub_f32_e32 v85, v85, v100
	v_add_f32_e32 v98, v98, v4
	v_mul_f32_e32 v100, 0x3f62ad3f, v36
	v_add_f32_e32 v81, v91, v81
	v_add_f32_e32 v91, v106, v105
	v_mul_f32_e32 v88, 0xbf6f5d39, v88
	v_add_f32_e32 v85, v85, v98
	v_mul_f32_e32 v98, 0xbf788fa5, v46
	v_sub_f32_e32 v100, v100, v101
	v_mul_f32_e32 v101, 0x3df6dbef, v39
	v_add_f32_e32 v78, v77, v78
	v_add_f32_e32 v77, v91, v81
	;; [unrolled: 1-line block ×4, first 2 shown]
	v_sub_f32_e32 v91, v101, v103
	v_mul_f32_e32 v100, 0xbf788fa5, v44
	v_fma_f32 v98, 0xbeb58ec6, v48, -v88
	v_add_f32_e32 v81, v81, v77
	v_mul_f32_e32 v77, 0x3f116cb1, v51
	v_add_f32_e32 v85, v91, v85
	v_add_f32_e32 v91, v125, v5
	v_sub_f32_e32 v99, v100, v99
	v_mul_f32_e32 v100, 0x3f116cb1, v48
	v_add_f32_e32 v101, v104, v77
	v_add_f32_e32 v77, v98, v80
	;; [unrolled: 1-line block ×4, first 2 shown]
	v_sub_f32_e32 v91, v100, v102
	v_mul_f32_e32 v98, 0x3df6dbef, v27
	v_fmamk_f32 v65, v26, 0xbf3f9e67, v65
	v_add_f32_e32 v99, v123, v80
	v_fmamk_f32 v90, v39, 0xbf788fa5, v90
	v_add_f32_e32 v80, v91, v85
	v_mul_f32_e32 v85, 0xbf788fa5, v33
	v_add_f32_e32 v91, v93, v98
	v_add_f32_e32 v65, v65, v4
	v_fmamk_f32 v98, v32, 0x3df6dbef, v124
	v_add_f32_e32 v7, v7, v5
	v_add_f32_e32 v85, v95, v85
	;; [unrolled: 1-line block ×3, first 2 shown]
	v_mul_f32_e32 v95, 0xbeb58ec6, v37
	v_add_f32_e32 v65, v98, v65
	v_fmamk_f32 v98, v36, 0x3f116cb1, v129
	v_add_f32_e32 v7, v21, v7
	v_add_f32_e32 v85, v85, v91
	;; [unrolled: 1-line block ×3, first 2 shown]
	v_mul_f32_e32 v94, 0x3f62ad3f, v40
	v_mul_f32_e32 v95, 0x3df6dbef, v26
	v_add_f32_e32 v65, v98, v65
	v_add_f32_e32 v6, v6, v4
	;; [unrolled: 1-line block ×4, first 2 shown]
	v_sub_f32_e32 v83, v95, v83
	v_mul_f32_e32 v92, 0xbf788fa5, v32
	v_add_f32_e32 v65, v90, v65
	v_mul_f32_e32 v90, 0x3f116cb1, v46
	v_add_f32_e32 v85, v91, v85
	v_add_f32_e32 v83, v83, v4
	v_sub_f32_e32 v84, v92, v84
	v_mul_f32_e32 v92, 0xbeb58ec6, v36
	v_add_f32_e32 v90, v97, v90
	v_mul_f32_e32 v95, 0xbf788fa5, v36
	v_mul_f32_e32 v94, 0x3f62ad3f, v27
	v_add_f32_e32 v83, v84, v83
	v_sub_f32_e32 v89, v92, v89
	v_mul_f32_e32 v84, 0x3f116cb1, v26
	v_add_f32_e32 v85, v90, v85
	v_mul_f32_e32 v90, 0x3f62ad3f, v39
	v_mul_f32_e32 v92, 0x3f116cb1, v27
	v_add_f32_e32 v83, v89, v83
	v_mul_f32_e32 v89, 0xbeb58ec6, v33
	v_sub_f32_e32 v57, v84, v57
	v_sub_f32_e32 v87, v90, v87
	v_mul_f32_e32 v90, 0x3f116cb1, v44
	v_add_f32_e32 v68, v68, v92
	v_add_f32_e32 v73, v73, v89
	v_mul_f32_e32 v89, 0xbeb58ec6, v32
	v_add_f32_e32 v57, v57, v4
	v_sub_f32_e32 v86, v90, v86
	v_mul_f32_e32 v90, 0xbf3f9e67, v51
	v_mul_f32_e32 v92, 0x3f116cb1, v33
	v_sub_f32_e32 v58, v89, v58
	v_mul_f32_e32 v89, 0xbf3f9e67, v39
	v_add_f32_e32 v68, v68, v5
	v_add_f32_e32 v90, v96, v90
	;; [unrolled: 1-line block ×4, first 2 shown]
	v_sub_f32_e32 v58, v95, v59
	v_mul_f32_e32 v59, 0x3df6dbef, v44
	v_sub_f32_e32 v63, v89, v63
	v_mul_f32_e32 v87, 0xbf788fa5, v37
	v_add_f32_e32 v68, v73, v68
	v_add_f32_e32 v58, v58, v57
	v_sub_f32_e32 v64, v59, v64
	v_add_f32_e32 v59, v90, v85
	v_add_f32_e32 v85, v42, v94
	;; [unrolled: 1-line block ×4, first 2 shown]
	v_mul_f32_e32 v87, 0x3df6dbef, v37
	v_add_f32_e32 v83, v86, v83
	v_mul_f32_e32 v86, 0xbf3f9e67, v40
	v_add_f32_e32 v43, v43, v92
	v_add_f32_e32 v63, v64, v63
	;; [unrolled: 1-line block ×5, first 2 shown]
	v_mul_f32_e32 v84, 0xbeb58ec6, v40
	v_add_f32_e32 v66, v66, v86
	v_mul_f32_e32 v86, 0x3df6dbef, v46
	v_add_f32_e32 v43, v43, v64
	v_add_f32_e32 v21, v47, v87
	;; [unrolled: 1-line block ×6, first 2 shown]
	v_mul_f32_e32 v96, 0xbf3f9e67, v46
	v_add_f32_e32 v21, v21, v43
	v_add_f32_e32 v20, v50, v84
	;; [unrolled: 1-line block ×5, first 2 shown]
	v_mul_f32_e32 v67, 0xbf788fa5, v51
	v_add_f32_e32 v20, v20, v21
	v_add_f32_e32 v21, v53, v96
	;; [unrolled: 1-line block ×4, first 2 shown]
	v_mul_f32_e32 v91, 0x3f62ad3f, v26
	v_fmamk_f32 v82, v44, 0x3f62ad3f, v82
	v_add_f32_e32 v19, v21, v20
	v_add_f32_e32 v13, v55, v67
	;; [unrolled: 1-line block ×5, first 2 shown]
	v_mul_f32_e32 v82, 0x3f116cb1, v32
	v_sub_f32_e32 v38, v91, v38
	v_add_f32_e32 v7, v13, v19
	v_add_f32_e32 v12, v12, v6
	v_fma_f32 v13, 0xbf788fa5, v27, -v110
	v_add_f32_e32 v9, v9, v15
	v_fmac_f32_e32 v112, 0xbf788fa5, v26
	v_mul_f32_e32 v73, 0x3df6dbef, v36
	v_add_f32_e32 v38, v38, v4
	v_sub_f32_e32 v41, v82, v41
	v_add_f32_e32 v12, v14, v12
	v_add_f32_e32 v5, v13, v5
	v_fma_f32 v13, 0x3f62ad3f, v33, -v111
	v_add_f32_e32 v9, v11, v9
	v_add_f32_e32 v4, v112, v4
	v_fmac_f32_e32 v113, 0x3f62ad3f, v32
	v_mul_f32_e32 v74, 0xbeb58ec6, v39
	v_add_f32_e32 v38, v41, v38
	v_sub_f32_e32 v41, v73, v45
	v_add_f32_e32 v8, v8, v12
	v_add_f32_e32 v5, v13, v5
	v_fma_f32 v11, 0xbf3f9e67, v37, -v114
	v_add_f32_e32 v1, v1, v9
	v_add_f32_e32 v4, v113, v4
	v_fmac_f32_e32 v116, 0xbf3f9e67, v36
	v_mul_f32_e32 v68, 0xbf3f9e67, v44
	v_mul_f32_e32 v86, 0xbf3f9e67, v48
	v_add_f32_e32 v23, v41, v38
	v_sub_f32_e32 v17, v74, v49
	v_add_f32_e32 v8, v10, v8
	v_add_f32_e32 v5, v11, v5
	v_fma_f32 v9, 0x3f116cb1, v40, -v118
	v_add_f32_e32 v1, v3, v1
	v_add_f32_e32 v3, v116, v4
	v_fmac_f32_e32 v121, 0x3f116cb1, v39
	v_sub_f32_e32 v79, v86, v79
	v_mul_f32_e32 v86, 0xbf788fa5, v48
	v_add_f32_e32 v17, v17, v23
	v_sub_f32_e32 v16, v68, v52
	v_add_f32_e32 v0, v0, v8
	v_add_f32_e32 v4, v9, v5
	v_fma_f32 v5, 0xbeb58ec6, v46, -v119
	v_mul_f32_e32 v95, 0x3f62ad3f, v51
	v_mul_f32_e32 v89, 0x3f62ad3f, v48
	v_add_f32_e32 v3, v121, v3
	v_fmac_f32_e32 v120, 0xbeb58ec6, v44
	v_add_f32_e32 v93, v122, v99
	v_add_f32_e32 v16, v16, v17
	v_sub_f32_e32 v17, v86, v54
	v_add_f32_e32 v0, v2, v0
	v_add_f32_e32 v2, v5, v4
	v_mov_b32_e32 v4, 3
	v_add_f32_e32 v72, v72, v95
	v_sub_f32_e32 v56, v89, v56
	v_fma_f32 v5, 0x3df6dbef, v51, -v126
	v_add_f32_e32 v8, v120, v3
	v_fmac_f32_e32 v115, 0x3df6dbef, v48
	v_add_f32_e32 v93, v130, v93
	v_fmamk_f32 v88, v48, 0xbeb58ec6, v88
	v_add_f32_e32 v6, v17, v16
	v_add_f32_e32 v1, v25, v1
	;; [unrolled: 1-line block ×3, first 2 shown]
	v_lshlrev_b32_sdwa v4, v4, v71 dst_sel:DWORD dst_unused:UNUSED_PAD src0_sel:DWORD src1_sel:WORD_0
	v_add_f32_e32 v58, v79, v83
	v_add_f32_e32 v42, v72, v66
	;; [unrolled: 1-line block ×8, first 2 shown]
	ds_write2_b64 v4, v[0:1], v[6:7] offset1:1
	ds_write2_b64 v4, v[41:42], v[58:59] offset0:2 offset1:3
	ds_write2_b64 v4, v[80:81], v[77:78] offset0:4 offset1:5
	;; [unrolled: 1-line block ×5, first 2 shown]
	ds_write_b64 v4, v[61:62] offset:96
.LBB0_7:
	s_or_b32 exec_lo, exec_lo, s4
	v_and_b32_e32 v0, 0xff, v70
	s_load_dwordx4 s[4:7], s[0:1], 0x0
	s_waitcnt lgkmcnt(0)
	s_barrier
	buffer_gl0_inv
	v_mul_lo_u16 v0, 0x4f, v0
	v_add_nc_u32_e32 v74, 0x400, v69
	v_mov_b32_e32 v33, 0x75
	v_add_nc_u32_e32 v73, 0x800, v69
	v_cmp_gt_u16_e64 s0, 13, v70
	v_lshrrev_b16 v32, 10, v0
	v_mul_lo_u16 v0, v32, 13
	v_mul_u32_u24_sdwa v41, v32, v33 dst_sel:DWORD dst_unused:UNUSED_PAD src0_sel:WORD_0 src1_sel:DWORD
	v_sub_nc_u16 v0, v70, v0
	v_and_b32_e32 v40, 0xff, v0
	v_lshlrev_b32_e32 v0, 6, v40
	v_add_lshl_u32 v72, v41, v40, 3
	s_clause 0x3
	global_load_dwordx4 v[12:15], v0, s[2:3]
	global_load_dwordx4 v[8:11], v0, s[2:3] offset:16
	global_load_dwordx4 v[4:7], v0, s[2:3] offset:32
	;; [unrolled: 1-line block ×3, first 2 shown]
	ds_read2_b64 v[16:19], v69 offset1:52
	ds_read2_b64 v[20:23], v69 offset0:104 offset1:156
	ds_read2_b64 v[24:27], v74 offset0:80 offset1:132
	ds_read2_b64 v[36:39], v73 offset0:56 offset1:108
	ds_read_b64 v[32:33], v69 offset:3328
	s_waitcnt vmcnt(0) lgkmcnt(0)
	s_barrier
	buffer_gl0_inv
	v_mul_f32_e32 v41, v18, v13
	v_mul_f32_e32 v42, v21, v15
	;; [unrolled: 1-line block ×14, first 2 shown]
	v_fmac_f32_e32 v41, v19, v12
	v_fma_f32 v19, v20, v14, -v42
	v_fmac_f32_e32 v43, v21, v14
	v_fma_f32 v20, v22, v8, -v44
	v_fma_f32 v21, v24, v10, -v46
	v_fmac_f32_e32 v47, v25, v10
	v_fma_f32 v22, v26, v4, -v48
	v_fmac_f32_e32 v49, v27, v4
	v_fmac_f32_e32 v55, v33, v2
	v_fma_f32 v25, v38, v0, -v52
	v_fmac_f32_e32 v53, v39, v0
	v_mul_f32_e32 v50, v37, v7
	v_mul_f32_e32 v51, v36, v7
	v_fma_f32 v18, v18, v12, -v40
	v_fma_f32 v24, v32, v2, -v54
	v_add_f32_e32 v27, v41, v55
	v_add_f32_e32 v32, v19, v25
	;; [unrolled: 1-line block ×3, first 2 shown]
	v_sub_f32_e32 v38, v41, v55
	v_sub_f32_e32 v40, v21, v22
	;; [unrolled: 1-line block ×3, first 2 shown]
	v_fmac_f32_e32 v45, v23, v8
	v_fma_f32 v23, v36, v6, -v50
	v_fmac_f32_e32 v51, v37, v6
	v_sub_f32_e32 v39, v43, v53
	v_add_f32_e32 v42, v21, v22
	v_add_f32_e32 v43, v47, v49
	;; [unrolled: 1-line block ×3, first 2 shown]
	v_sub_f32_e32 v24, v18, v24
	v_sub_f32_e32 v25, v19, v25
	v_mul_f32_e32 v58, 0x3f7c1c5c, v40
	v_mul_f32_e32 v59, 0x3f7c1c5c, v41
	v_fmamk_f32 v63, v32, 0x3f441b7d, v16
	v_fmamk_f32 v64, v33, 0x3f441b7d, v17
	v_add_f32_e32 v36, v20, v23
	v_add_f32_e32 v37, v45, v51
	v_sub_f32_e32 v20, v20, v23
	v_sub_f32_e32 v23, v45, v51
	v_mul_f32_e32 v50, 0xbf248dbb, v40
	v_mul_f32_e32 v51, 0xbf248dbb, v41
	v_fmamk_f32 v52, v42, 0x3f441b7d, v16
	v_fmamk_f32 v53, v43, 0x3f441b7d, v17
	v_mul_f32_e32 v44, 0x3f248dbb, v24
	v_mul_f32_e32 v45, 0x3f248dbb, v38
	v_fmamk_f32 v46, v26, 0x3f441b7d, v16
	v_fmamk_f32 v48, v27, 0x3f441b7d, v17
	v_add_f32_e32 v56, v32, v26
	v_add_f32_e32 v57, v33, v27
	v_fma_f32 v58, 0xbf248dbb, v25, -v58
	v_fma_f32 v59, 0xbf248dbb, v39, -v59
	v_fmac_f32_e32 v63, 0x3e31d0d4, v42
	v_fmac_f32_e32 v64, 0x3e31d0d4, v43
	;; [unrolled: 1-line block ×10, first 2 shown]
	v_add_f32_e32 v65, v42, v56
	v_add_f32_e32 v66, v43, v57
	v_add_f32_e32 v56, v36, v56
	v_add_f32_e32 v57, v37, v57
	v_fmac_f32_e32 v58, 0x3f5db3d7, v20
	v_fmac_f32_e32 v59, 0x3f5db3d7, v23
	v_fmac_f32_e32 v63, -0.5, v36
	v_fmac_f32_e32 v64, -0.5, v37
	v_add_f32_e32 v54, v40, v24
	v_add_f32_e32 v55, v41, v38
	;; [unrolled: 1-line block ×4, first 2 shown]
	v_fmac_f32_e32 v50, 0xbf5db3d7, v20
	v_fmac_f32_e32 v51, 0xbf5db3d7, v23
	v_fmac_f32_e32 v52, -0.5, v36
	v_fmac_f32_e32 v53, -0.5, v37
	v_fmac_f32_e32 v44, 0x3f5db3d7, v20
	v_fmac_f32_e32 v45, 0x3f5db3d7, v23
	v_fmac_f32_e32 v46, -0.5, v36
	v_fmac_f32_e32 v48, -0.5, v37
	v_add_f32_e32 v20, v21, v56
	v_add_f32_e32 v21, v47, v57
	v_fmac_f32_e32 v58, 0x3eaf1d44, v24
	v_fmac_f32_e32 v59, 0x3eaf1d44, v38
	;; [unrolled: 1-line block ×4, first 2 shown]
	v_sub_f32_e32 v54, v54, v25
	v_sub_f32_e32 v55, v55, v39
	v_fmac_f32_e32 v18, -0.5, v65
	v_fmac_f32_e32 v19, -0.5, v66
	v_fmac_f32_e32 v50, 0x3eaf1d44, v25
	v_fmac_f32_e32 v51, 0x3eaf1d44, v39
	;; [unrolled: 1-line block ×8, first 2 shown]
	v_add_f32_e32 v32, v22, v20
	v_add_f32_e32 v33, v49, v21
	;; [unrolled: 1-line block ×3, first 2 shown]
	v_sub_f32_e32 v27, v64, v58
	v_mul_f32_e32 v67, 0x3f5db3d7, v54
	v_mul_f32_e32 v68, 0x3f5db3d7, v55
	v_fmac_f32_e32 v18, 0x3f5db3d7, v55
	v_fmac_f32_e32 v19, 0xbf5db3d7, v54
	v_add_f32_e32 v22, v51, v52
	v_sub_f32_e32 v23, v53, v50
	v_add_f32_e32 v20, v45, v46
	v_sub_f32_e32 v21, v48, v44
	v_add_f32_e32 v16, v32, v16
	v_add_f32_e32 v17, v33, v17
	v_fma_f32 v38, -2.0, v59, v26
	v_fma_f32 v39, 2.0, v58, v27
	v_fma_f32 v24, -2.0, v68, v18
	v_fma_f32 v25, 2.0, v67, v19
	;; [unrolled: 2-line block ×4, first 2 shown]
	ds_write2_b64 v72, v[16:17], v[20:21] offset1:13
	ds_write2_b64 v72, v[22:23], v[18:19] offset0:26 offset1:39
	ds_write2_b64 v72, v[26:27], v[38:39] offset0:52 offset1:65
	;; [unrolled: 1-line block ×3, first 2 shown]
	ds_write_b64 v72, v[32:33] offset:832
	s_waitcnt lgkmcnt(0)
	s_barrier
	buffer_gl0_inv
	ds_read2_b64 v[36:39], v69 offset1:52
	ds_read2_b64 v[40:43], v69 offset0:117 offset1:169
	ds_read2_b64 v[44:47], v74 offset0:106 offset1:158
	;; [unrolled: 1-line block ×3, first 2 shown]
	s_and_saveexec_b32 s1, s0
	s_cbranch_execz .LBB0_9
; %bb.8:
	ds_read2_b64 v[32:35], v69 offset0:104 offset1:221
	ds_read2_b64 v[28:31], v73 offset0:82 offset1:199
.LBB0_9:
	s_or_b32 exec_lo, exec_lo, s1
	v_mad_u64_u32 v[16:17], null, v70, 24, s[2:3]
	v_add_nc_u32_e32 v18, 0x68, v70
	v_add_nc_u32_e32 v19, -13, v70
	s_clause 0x1
	global_load_dwordx4 v[24:27], v[16:17], off offset:832
	global_load_dwordx2 v[67:68], v[16:17], off offset:848
	v_cndmask_b32_e64 v52, v19, v18, s0
	v_add_co_u32 v18, s1, 0x800, v16
	v_add_co_ci_u32_e64 v19, s1, 0, v17, s1
	v_add_co_u32 v16, s1, 0x820, v16
	v_add_co_ci_u32_e64 v17, s1, 0, v17, s1
	s_clause 0x1
	global_load_dwordx4 v[20:23], v[18:19], off offset:32
	global_load_dwordx2 v[65:66], v[16:17], off offset:16
	v_mul_i32_i24_e32 v18, 24, v52
	v_mul_hi_i32_i24_e32 v16, 24, v52
	v_add_co_u32 v52, s1, s2, v18
	v_add_co_ci_u32_e64 v53, s1, s3, v16, s1
	s_clause 0x1
	global_load_dwordx4 v[16:19], v[52:53], off offset:832
	global_load_dwordx2 v[63:64], v[52:53], off offset:848
	s_waitcnt vmcnt(5) lgkmcnt(2)
	v_mul_f32_e32 v52, v41, v25
	v_mul_f32_e32 v53, v40, v25
	s_waitcnt lgkmcnt(1)
	v_mul_f32_e32 v54, v45, v27
	v_mul_f32_e32 v55, v44, v27
	s_waitcnt vmcnt(4) lgkmcnt(0)
	v_mul_f32_e32 v56, v49, v68
	v_mul_f32_e32 v57, v48, v68
	v_fma_f32 v40, v40, v24, -v52
	v_fmac_f32_e32 v53, v41, v24
	v_fma_f32 v41, v44, v26, -v54
	v_fmac_f32_e32 v55, v45, v26
	;; [unrolled: 2-line block ×3, first 2 shown]
	s_waitcnt vmcnt(3)
	v_mul_f32_e32 v45, v43, v21
	v_mul_f32_e32 v49, v47, v23
	;; [unrolled: 1-line block ×3, first 2 shown]
	s_waitcnt vmcnt(2)
	v_mul_f32_e32 v54, v51, v66
	v_mul_f32_e32 v56, v50, v66
	;; [unrolled: 1-line block ×3, first 2 shown]
	v_fma_f32 v45, v42, v20, -v45
	v_fma_f32 v46, v46, v22, -v49
	v_fmac_f32_e32 v52, v47, v22
	v_fma_f32 v47, v50, v65, -v54
	v_fmac_f32_e32 v56, v51, v65
	v_sub_f32_e32 v49, v36, v41
	v_sub_f32_e32 v50, v37, v55
	;; [unrolled: 1-line block ×4, first 2 shown]
	s_waitcnt vmcnt(1)
	v_mul_f32_e32 v44, v35, v17
	v_mul_f32_e32 v54, v34, v17
	;; [unrolled: 1-line block ×4, first 2 shown]
	s_waitcnt vmcnt(0)
	v_mul_f32_e32 v57, v31, v64
	v_mul_f32_e32 v58, v30, v64
	v_fmac_f32_e32 v48, v43, v20
	v_fma_f32 v36, v36, 2.0, -v49
	v_fma_f32 v37, v37, 2.0, -v50
	;; [unrolled: 1-line block ×4, first 2 shown]
	v_sub_f32_e32 v46, v38, v46
	v_sub_f32_e32 v52, v39, v52
	;; [unrolled: 1-line block ×3, first 2 shown]
	v_fma_f32 v34, v34, v16, -v44
	v_fmac_f32_e32 v54, v35, v16
	v_fma_f32 v28, v28, v18, -v51
	v_fmac_f32_e32 v55, v29, v18
	;; [unrolled: 2-line block ×3, first 2 shown]
	v_add_f32_e32 v43, v50, v41
	v_sub_f32_e32 v56, v48, v56
	v_sub_f32_e32 v40, v36, v40
	;; [unrolled: 1-line block ×3, first 2 shown]
	v_fma_f32 v35, v38, 2.0, -v46
	v_fma_f32 v38, v39, 2.0, -v52
	v_fma_f32 v39, v45, 2.0, -v47
	v_add_f32_e32 v51, v52, v47
	v_sub_f32_e32 v53, v32, v28
	v_sub_f32_e32 v55, v33, v55
	;; [unrolled: 1-line block ×5, first 2 shown]
	v_fma_f32 v31, v50, 2.0, -v43
	v_fma_f32 v44, v48, 2.0, -v56
	v_sub_f32_e32 v50, v46, v56
	v_fma_f32 v28, v36, 2.0, -v40
	v_fma_f32 v32, v32, 2.0, -v53
	;; [unrolled: 1-line block ×6, first 2 shown]
	v_sub_f32_e32 v48, v35, v39
	v_sub_f32_e32 v49, v38, v44
	v_fma_f32 v58, v46, 2.0, -v50
	v_sub_f32_e32 v46, v53, v47
	v_add_f32_e32 v47, v55, v45
	v_sub_f32_e32 v44, v32, v34
	v_sub_f32_e32 v45, v33, v36
	v_fma_f32 v29, v37, 2.0, -v41
	v_fma_f32 v59, v52, 2.0, -v51
	;; [unrolled: 1-line block ×8, first 2 shown]
	ds_write2_b64 v69, v[28:29], v[56:57] offset1:52
	ds_write2_b64 v69, v[30:31], v[58:59] offset0:117 offset1:169
	ds_write2_b64 v74, v[40:41], v[48:49] offset0:106 offset1:158
	ds_write2_b64 v73, v[42:43], v[50:51] offset0:95 offset1:147
	s_and_saveexec_b32 s1, s0
	s_cbranch_execz .LBB0_11
; %bb.10:
	v_add_nc_u32_e32 v32, 0x800, v69
	ds_write2_b64 v69, v[52:53], v[54:55] offset0:104 offset1:221
	ds_write2_b64 v32, v[44:45], v[46:47] offset0:82 offset1:199
.LBB0_11:
	s_or_b32 exec_lo, exec_lo, s1
	s_waitcnt lgkmcnt(0)
	s_barrier
	buffer_gl0_inv
	s_and_saveexec_b32 s2, vcc_lo
	s_cbranch_execz .LBB0_13
; %bb.12:
	v_add_co_u32 v38, s1, s14, v69
	v_add_co_ci_u32_e64 v39, null, s15, 0, s1
	v_add_nc_u32_e32 v114, 0x400, v69
	v_add_co_u32 v32, s1, 0x800, v38
	v_add_co_ci_u32_e64 v33, s1, 0, v39, s1
	v_add_co_u32 v34, s1, 0xea0, v38
	v_add_co_ci_u32_e64 v35, s1, 0, v39, s1
	global_load_dwordx2 v[32:33], v[32:33], off offset:1696
	v_add_co_u32 v36, s1, 0x1000, v38
	v_add_co_ci_u32_e64 v37, s1, 0, v39, s1
	s_clause 0x1
	global_load_dwordx2 v[89:90], v[34:35], off offset:288
	global_load_dwordx2 v[91:92], v[34:35], off offset:576
	v_add_co_u32 v38, s1, 0x1800, v38
	s_clause 0x3
	global_load_dwordx2 v[93:94], v[34:35], off offset:864
	global_load_dwordx2 v[95:96], v[34:35], off offset:1152
	;; [unrolled: 1-line block ×4, first 2 shown]
	v_add_co_ci_u32_e64 v39, s1, 0, v39, s1
	s_clause 0x5
	global_load_dwordx2 v[101:102], v[34:35], off offset:2016
	global_load_dwordx2 v[103:104], v[36:37], off offset:1952
	;; [unrolled: 1-line block ×6, first 2 shown]
	ds_read_b64 v[34:35], v69
	v_add_nc_u32_e32 v115, 0x800, v69
	s_waitcnt vmcnt(12) lgkmcnt(0)
	v_mul_f32_e32 v36, v35, v33
	v_mul_f32_e32 v37, v34, v33
	v_fma_f32 v36, v34, v32, -v36
	v_fmac_f32_e32 v37, v35, v32
	ds_write_b64 v69, v[36:37]
	ds_read2_b64 v[32:35], v69 offset0:36 offset1:72
	ds_read2_b64 v[36:39], v69 offset0:108 offset1:144
	;; [unrolled: 1-line block ×6, first 2 shown]
	s_waitcnt vmcnt(11) lgkmcnt(5)
	v_mul_f32_e32 v116, v33, v90
	v_mul_f32_e32 v113, v32, v90
	s_waitcnt vmcnt(10)
	v_mul_f32_e32 v117, v35, v92
	v_mul_f32_e32 v90, v34, v92
	s_waitcnt vmcnt(9) lgkmcnt(4)
	v_mul_f32_e32 v118, v37, v94
	v_mul_f32_e32 v92, v36, v94
	s_waitcnt vmcnt(8)
	v_mul_f32_e32 v119, v39, v96
	v_mul_f32_e32 v94, v38, v96
	;; [unrolled: 6-line block ×6, first 2 shown]
	v_fma_f32 v112, v32, v89, -v116
	v_fmac_f32_e32 v113, v33, v89
	v_fma_f32 v89, v34, v91, -v117
	v_fmac_f32_e32 v90, v35, v91
	;; [unrolled: 2-line block ×12, first 2 shown]
	ds_write2_b64 v69, v[112:113], v[89:90] offset0:36 offset1:72
	ds_write2_b64 v69, v[91:92], v[93:94] offset0:108 offset1:144
	;; [unrolled: 1-line block ×6, first 2 shown]
.LBB0_13:
	s_or_b32 exec_lo, exec_lo, s2
	s_waitcnt lgkmcnt(0)
	s_barrier
	buffer_gl0_inv
	s_and_saveexec_b32 s1, vcc_lo
	s_cbranch_execz .LBB0_15
; %bb.14:
	v_add_nc_u32_e32 v32, 0x800, v69
	ds_read2_b64 v[28:31], v69 offset1:36
	ds_read2_b64 v[40:43], v69 offset0:72 offset1:108
	ds_read2_b64 v[56:59], v69 offset0:144 offset1:180
	;; [unrolled: 1-line block ×5, first 2 shown]
	ds_read_b64 v[61:62], v69 offset:3456
.LBB0_15:
	s_or_b32 exec_lo, exec_lo, s1
	s_waitcnt lgkmcnt(0)
	v_sub_f32_e32 v79, v31, v62
	v_add_f32_e32 v86, v62, v31
	v_add_f32_e32 v36, v61, v30
	v_sub_f32_e32 v37, v30, v61
	v_sub_f32_e32 v82, v41, v47
	v_mul_f32_e32 v88, 0xbf52af12, v79
	v_mul_f32_e32 v91, 0x3f116cb1, v86
	v_add_f32_e32 v89, v47, v41
	v_mul_f32_e32 v95, 0xbf7e222b, v79
	v_mul_f32_e32 v100, 0x3df6dbef, v86
	;; [unrolled: 1-line block ×3, first 2 shown]
	v_fma_f32 v32, 0x3f116cb1, v36, -v88
	v_fmamk_f32 v33, v37, 0xbf52af12, v91
	v_add_f32_e32 v73, v46, v40
	v_mul_f32_e32 v92, 0xbf6f5d39, v82
	v_sub_f32_e32 v74, v40, v46
	v_mul_f32_e32 v97, 0xbeb58ec6, v89
	v_mul_f32_e32 v112, 0xbeb58ec6, v86
	v_fma_f32 v34, 0x3df6dbef, v36, -v95
	v_fmamk_f32 v35, v37, 0xbf7e222b, v100
	v_add_f32_e32 v32, v28, v32
	v_add_f32_e32 v33, v29, v33
	v_fma_f32 v38, 0xbeb58ec6, v36, -v105
	v_mul_f32_e32 v102, 0xbe750f2a, v82
	v_fma_f32 v75, 0xbeb58ec6, v73, -v92
	v_mul_f32_e32 v106, 0xbf788fa5, v89
	v_mul_f32_e32 v113, 0x3f29c268, v82
	v_fmamk_f32 v76, v74, 0xbf6f5d39, v97
	v_add_f32_e32 v93, v45, v43
	v_add_f32_e32 v34, v28, v34
	;; [unrolled: 1-line block ×3, first 2 shown]
	v_fmamk_f32 v39, v37, 0xbf6f5d39, v112
	v_add_f32_e32 v38, v28, v38
	v_fma_f32 v77, 0xbf788fa5, v73, -v102
	v_add_f32_e32 v32, v75, v32
	v_fmamk_f32 v75, v74, 0xbe750f2a, v106
	v_fma_f32 v78, 0xbf3f9e67, v73, -v113
	v_add_f32_e32 v33, v76, v33
	v_mul_f32_e32 v120, 0xbf3f9e67, v89
	v_sub_f32_e32 v85, v43, v45
	v_sub_f32_e32 v76, v42, v44
	v_mul_f32_e32 v101, 0xbf788fa5, v93
	v_add_f32_e32 v39, v29, v39
	v_add_f32_e32 v34, v77, v34
	;; [unrolled: 1-line block ×4, first 2 shown]
	v_fmamk_f32 v77, v74, 0x3f29c268, v120
	v_add_f32_e32 v75, v44, v42
	v_mul_f32_e32 v98, 0xbe750f2a, v85
	v_mul_f32_e32 v110, 0xbeb58ec6, v93
	v_fmamk_f32 v78, v76, 0xbe750f2a, v101
	v_add_f32_e32 v99, v55, v57
	v_mul_f32_e32 v108, 0x3f6f5d39, v85
	v_add_f32_e32 v39, v77, v39
	v_fma_f32 v77, 0xbf788fa5, v75, -v98
	v_mul_f32_e32 v119, 0x3eedf032, v85
	v_fmamk_f32 v81, v76, 0x3f6f5d39, v110
	v_add_f32_e32 v33, v78, v33
	v_sub_f32_e32 v78, v56, v54
	v_mul_f32_e32 v116, 0x3f62ad3f, v99
	v_fma_f32 v80, 0xbeb58ec6, v75, -v108
	v_add_f32_e32 v32, v77, v32
	v_fma_f32 v77, 0x3f62ad3f, v75, -v119
	v_add_f32_e32 v35, v81, v35
	v_mul_f32_e32 v124, 0x3f62ad3f, v93
	v_sub_f32_e32 v87, v57, v55
	v_fmamk_f32 v90, v78, 0x3eedf032, v116
	v_add_f32_e32 v34, v80, v34
	v_add_f32_e32 v38, v77, v38
	;; [unrolled: 1-line block ×3, first 2 shown]
	v_mul_f32_e32 v104, 0x3f29c268, v87
	v_mul_f32_e32 v107, 0xbf3f9e67, v99
	v_fmamk_f32 v80, v76, 0x3eedf032, v124
	v_add_f32_e32 v35, v90, v35
	v_sub_f32_e32 v90, v59, v53
	v_mul_f32_e32 v114, 0x3eedf032, v87
	v_fma_f32 v81, 0xbf3f9e67, v77, -v104
	v_fmamk_f32 v83, v78, 0x3f29c268, v107
	v_add_f32_e32 v39, v80, v39
	v_mul_f32_e32 v123, 0xbf7e222b, v87
	v_add_f32_e32 v96, v53, v59
	v_add_f32_e32 v80, v52, v58
	v_mul_f32_e32 v109, 0x3f7e222b, v90
	v_fma_f32 v84, 0x3f62ad3f, v77, -v114
	v_add_f32_e32 v32, v81, v32
	v_add_f32_e32 v33, v83, v33
	v_mul_f32_e32 v127, 0x3df6dbef, v99
	v_sub_f32_e32 v81, v58, v52
	v_mul_f32_e32 v111, 0x3df6dbef, v96
	v_fma_f32 v83, 0x3df6dbef, v77, -v123
	v_mul_f32_e32 v117, 0xbf52af12, v90
	v_fma_f32 v94, 0x3df6dbef, v80, -v109
	v_add_f32_e32 v34, v84, v34
	v_fmamk_f32 v84, v78, 0xbf7e222b, v127
	v_fmamk_f32 v103, v81, 0x3f7e222b, v111
	v_add_f32_e32 v38, v83, v38
	v_fma_f32 v83, 0x3f116cb1, v80, -v117
	v_add_f32_e32 v32, v94, v32
	v_mul_f32_e32 v121, 0x3f116cb1, v96
	v_sub_f32_e32 v94, v49, v51
	v_mul_f32_e32 v126, 0x3e750f2a, v90
	v_mul_f32_e32 v129, 0xbf788fa5, v96
	v_add_f32_e32 v39, v84, v39
	v_add_f32_e32 v33, v103, v33
	;; [unrolled: 1-line block ×3, first 2 shown]
	v_fmamk_f32 v34, v81, 0xbf52af12, v121
	v_add_f32_e32 v83, v50, v48
	v_mul_f32_e32 v115, 0x3eedf032, v94
	v_fma_f32 v84, 0xbf788fa5, v80, -v126
	v_fmamk_f32 v118, v81, 0x3e750f2a, v129
	v_add_f32_e32 v103, v51, v49
	v_add_f32_e32 v132, v34, v35
	v_fma_f32 v34, 0x3f62ad3f, v83, -v115
	v_add_f32_e32 v38, v84, v38
	v_add_f32_e32 v39, v118, v39
	v_sub_f32_e32 v84, v48, v50
	v_mul_f32_e32 v118, 0x3f62ad3f, v103
	v_mul_f32_e32 v122, 0xbf29c268, v94
	;; [unrolled: 1-line block ×5, first 2 shown]
	v_add_f32_e32 v34, v34, v32
	v_fmamk_f32 v32, v84, 0x3eedf032, v118
	v_fma_f32 v133, 0xbf3f9e67, v83, -v122
	v_fmamk_f32 v134, v84, 0xbf29c268, v125
	v_fma_f32 v135, 0x3f116cb1, v83, -v128
	v_fmamk_f32 v136, v84, 0x3f52af12, v130
	v_add_f32_e32 v35, v32, v33
	v_add_f32_e32 v32, v133, v131
	v_add_f32_e32 v33, v134, v132
	v_add_f32_e32 v38, v135, v38
	v_add_f32_e32 v39, v136, v39
	s_barrier
	buffer_gl0_inv
	s_and_saveexec_b32 s1, vcc_lo
	s_cbranch_execz .LBB0_17
; %bb.16:
	v_mul_f32_e32 v133, 0xbf29c268, v37
	v_mul_f32_e32 v134, 0x3f7e222b, v74
	;; [unrolled: 1-line block ×5, first 2 shown]
	v_fmamk_f32 v131, v86, 0xbf3f9e67, v133
	v_fmamk_f32 v132, v89, 0x3df6dbef, v134
	v_fma_f32 v152, 0xbf3f9e67, v36, -v149
	v_mul_f32_e32 v154, 0x3e750f2a, v78
	v_fma_f32 v155, 0x3df6dbef, v73, -v153
	v_add_f32_e32 v131, v29, v131
	v_mul_f32_e32 v156, 0xbf52af12, v85
	v_add_f32_e32 v152, v28, v152
	v_mul_f32_e32 v157, 0x3eedf032, v81
	v_mul_f32_e32 v158, 0x3e750f2a, v87
	v_add_f32_e32 v131, v132, v131
	v_fmamk_f32 v132, v93, 0x3f116cb1, v150
	v_add_f32_e32 v152, v155, v152
	v_fma_f32 v155, 0x3f116cb1, v75, -v156
	v_mul_f32_e32 v159, 0xbf6f5d39, v84
	v_mul_f32_e32 v160, 0x3eedf032, v90
	v_add_f32_e32 v131, v132, v131
	v_fmamk_f32 v132, v99, 0xbf788fa5, v154
	v_add_f32_e32 v152, v155, v152
	v_fma_f32 v155, 0xbf788fa5, v77, -v158
	;; [unrolled: 6-line block ×3, first 2 shown]
	v_mul_f32_e32 v164, 0xbe750f2a, v79
	v_fmamk_f32 v165, v74, 0xbeedf032, v163
	v_add_f32_e32 v131, v132, v131
	v_fmamk_f32 v132, v103, 0xbeb58ec6, v159
	v_add_f32_e32 v152, v155, v152
	v_mul_f32_e32 v155, 0xbf6f5d39, v94
	v_mul_f32_e32 v166, 0xbf3f9e67, v93
	v_fmamk_f32 v168, v36, 0xbf788fa5, v164
	v_add_f32_e32 v132, v132, v131
	v_fmamk_f32 v131, v37, 0x3e750f2a, v161
	v_mul_f32_e32 v169, 0x3eedf032, v82
	v_fma_f32 v167, 0xbeb58ec6, v83, -v155
	v_mul_f32_e32 v170, 0x3f116cb1, v99
	v_add_f32_e32 v168, v28, v168
	v_add_f32_e32 v131, v29, v131
	v_fmamk_f32 v171, v73, 0x3f62ad3f, v169
	v_fma_f32 v133, 0xbf3f9e67, v86, -v133
	v_fmamk_f32 v173, v78, 0xbf52af12, v170
	v_mul_f32_e32 v140, 0xbf6f5d39, v37
	v_add_f32_e32 v131, v165, v131
	v_fmamk_f32 v165, v76, 0x3f29c268, v166
	v_add_f32_e32 v133, v29, v133
	v_fma_f32 v134, 0x3df6dbef, v89, -v134
	v_mul_f32_e32 v175, 0x3df6dbef, v103
	v_mul_f32_e32 v146, 0x3f29c268, v74
	v_add_f32_e32 v165, v165, v131
	v_add_f32_e32 v131, v167, v152
	;; [unrolled: 1-line block ×3, first 2 shown]
	v_mul_f32_e32 v171, 0xbeb58ec6, v96
	v_add_f32_e32 v133, v134, v133
	v_add_f32_e32 v165, v173, v165
	v_fma_f32 v134, 0x3f116cb1, v93, -v150
	v_sub_f32_e32 v112, v112, v140
	v_fmamk_f32 v174, v81, 0x3f6f5d39, v171
	v_sub_f32_e32 v120, v120, v146
	v_mul_f32_e32 v139, 0xbeb58ec6, v36
	v_mul_f32_e32 v172, 0xbf29c268, v85
	v_add_f32_e32 v112, v29, v112
	v_add_f32_e32 v150, v174, v165
	v_fmamk_f32 v165, v84, 0xbf7e222b, v175
	v_add_f32_e32 v174, v134, v133
	v_mul_f32_e32 v146, 0xbf7e222b, v78
	v_add_f32_e32 v112, v120, v112
	v_mul_f32_e32 v145, 0xbf3f9e67, v73
	;; [unrolled: 2-line block ×3, first 2 shown]
	v_fmamk_f32 v167, v75, 0xbf3f9e67, v172
	v_mul_f32_e32 v168, 0x3f52af12, v87
	v_fmac_f32_e32 v149, 0xbf3f9e67, v36
	v_sub_f32_e32 v127, v127, v146
	v_sub_f32_e32 v124, v124, v150
	v_add_f32_e32 v105, v139, v105
	v_mul_f32_e32 v138, 0xbf7e222b, v37
	v_add_f32_e32 v152, v167, v152
	v_fmamk_f32 v167, v77, 0x3f116cb1, v168
	v_add_f32_e32 v112, v124, v112
	v_mul_f32_e32 v173, 0xbf6f5d39, v90
	v_mul_f32_e32 v177, 0x3f62ad3f, v75
	v_add_f32_e32 v149, v28, v149
	v_fmac_f32_e32 v153, 0x3df6dbef, v73
	v_add_f32_e32 v127, v127, v112
	v_add_f32_e32 v112, v145, v113
	;; [unrolled: 1-line block ×3, first 2 shown]
	v_mul_f32_e32 v137, 0x3df6dbef, v36
	v_mul_f32_e32 v144, 0xbe750f2a, v74
	v_add_f32_e32 v152, v167, v152
	v_fmamk_f32 v167, v80, 0xbeb58ec6, v173
	v_mul_f32_e32 v176, 0x3f7e222b, v94
	v_add_f32_e32 v149, v153, v149
	v_mul_f32_e32 v153, 0x3df6dbef, v77
	v_add_f32_e32 v105, v112, v105
	v_add_f32_e32 v119, v177, v119
	v_sub_f32_e32 v100, v100, v138
	v_mul_f32_e32 v143, 0xbf788fa5, v73
	v_mul_f32_e32 v162, 0x3f6f5d39, v76
	v_add_f32_e32 v152, v167, v152
	v_fmamk_f32 v167, v83, 0x3df6dbef, v176
	v_fma_f32 v154, 0xbf788fa5, v99, -v154
	v_fmac_f32_e32 v156, 0x3f116cb1, v75
	v_add_f32_e32 v105, v119, v105
	v_add_f32_e32 v119, v153, v123
	;; [unrolled: 1-line block ×3, first 2 shown]
	v_sub_f32_e32 v123, v106, v144
	v_add_f32_e32 v95, v137, v95
	v_mul_f32_e32 v136, 0xbf52af12, v37
	v_mul_f32_e32 v151, 0xbeb58ec6, v75
	v_add_f32_e32 v133, v167, v152
	v_add_f32_e32 v152, v154, v174
	v_fma_f32 v154, 0x3f62ad3f, v96, -v157
	v_mul_f32_e32 v140, 0x3eedf032, v78
	v_add_f32_e32 v149, v156, v149
	v_fmac_f32_e32 v158, 0xbf788fa5, v77
	v_add_f32_e32 v100, v123, v100
	v_sub_f32_e32 v110, v110, v162
	v_add_f32_e32 v95, v28, v95
	v_add_f32_e32 v102, v143, v102
	v_mul_f32_e32 v135, 0x3f116cb1, v36
	v_mul_f32_e32 v142, 0xbf6f5d39, v74
	v_add_f32_e32 v152, v154, v152
	v_mul_f32_e32 v154, 0x3f62ad3f, v77
	v_add_f32_e32 v149, v158, v149
	;; [unrolled: 2-line block ×3, first 2 shown]
	v_sub_f32_e32 v110, v116, v140
	v_add_f32_e32 v95, v102, v95
	v_add_f32_e32 v102, v151, v108
	v_sub_f32_e32 v91, v91, v136
	v_mul_f32_e32 v141, 0xbeb58ec6, v73
	v_mul_f32_e32 v148, 0xbe750f2a, v76
	;; [unrolled: 1-line block ×4, first 2 shown]
	v_add_f32_e32 v100, v110, v100
	v_sub_f32_e32 v108, v121, v158
	v_add_f32_e32 v95, v102, v95
	v_add_f32_e32 v102, v154, v114
	;; [unrolled: 1-line block ×3, first 2 shown]
	v_sub_f32_e32 v97, v97, v142
	v_add_f32_e32 v88, v135, v88
	v_mul_f32_e32 v147, 0xbf788fa5, v75
	v_mul_f32_e32 v165, 0x3f29c268, v78
	;; [unrolled: 1-line block ×3, first 2 shown]
	v_add_f32_e32 v100, v108, v100
	v_sub_f32_e32 v108, v125, v145
	v_add_f32_e32 v95, v102, v95
	v_add_f32_e32 v91, v97, v91
	v_sub_f32_e32 v97, v101, v148
	v_add_f32_e32 v101, v150, v117
	v_add_f32_e32 v88, v28, v88
	;; [unrolled: 1-line block ×3, first 2 shown]
	v_mul_f32_e32 v157, 0xbf3f9e67, v77
	v_mul_f32_e32 v120, 0x3f7e222b, v81
	v_add_f32_e32 v92, v108, v100
	v_add_f32_e32 v91, v97, v91
	v_sub_f32_e32 v97, v107, v165
	v_add_f32_e32 v95, v101, v95
	v_add_f32_e32 v88, v102, v88
	;; [unrolled: 1-line block ×4, first 2 shown]
	v_mul_f32_e32 v86, 0x3f62ad3f, v86
	v_mul_f32_e32 v156, 0x3df6dbef, v80
	v_fmac_f32_e32 v160, 0x3f62ad3f, v80
	v_add_f32_e32 v97, v97, v91
	v_sub_f32_e32 v101, v111, v120
	v_add_f32_e32 v88, v98, v88
	v_add_f32_e32 v98, v157, v104
	;; [unrolled: 1-line block ×3, first 2 shown]
	v_fmamk_f32 v95, v37, 0x3eedf032, v86
	v_mul_f32_e32 v100, 0x3f116cb1, v89
	v_add_f32_e32 v31, v31, v29
	v_add_f32_e32 v149, v160, v149
	v_mul_f32_e32 v160, 0x3f62ad3f, v83
	v_add_f32_e32 v89, v101, v97
	v_add_f32_e32 v88, v98, v88
	;; [unrolled: 1-line block ×4, first 2 shown]
	v_fmamk_f32 v98, v74, 0x3f52af12, v100
	v_mul_f32_e32 v93, 0x3df6dbef, v93
	v_add_f32_e32 v31, v41, v31
	v_add_f32_e32 v30, v30, v28
	;; [unrolled: 1-line block ×5, first 2 shown]
	v_fmamk_f32 v98, v76, 0x3f7e222b, v93
	v_mul_f32_e32 v99, 0xbeb58ec6, v99
	v_add_f32_e32 v31, v43, v31
	v_add_f32_e32 v30, v40, v30
	;; [unrolled: 1-line block ×4, first 2 shown]
	v_fmamk_f32 v97, v78, 0x3f6f5d39, v99
	v_mul_f32_e32 v96, 0xbf3f9e67, v96
	v_mul_f32_e32 v79, 0xbeedf032, v79
	v_add_f32_e32 v31, v57, v31
	v_add_f32_e32 v30, v42, v30
	;; [unrolled: 1-line block ×3, first 2 shown]
	v_fmamk_f32 v40, v81, 0x3f29c268, v96
	v_fmamk_f32 v43, v36, 0x3f62ad3f, v79
	v_mul_f32_e32 v82, 0xbf52af12, v82
	v_add_f32_e32 v31, v59, v31
	v_add_f32_e32 v30, v56, v30
	;; [unrolled: 1-line block ×4, first 2 shown]
	v_fmamk_f32 v42, v73, 0x3f116cb1, v82
	v_mul_f32_e32 v43, 0xbf7e222b, v85
	v_mul_f32_e32 v56, 0xbf788fa5, v103
	v_add_f32_e32 v31, v49, v31
	v_add_f32_e32 v30, v58, v30
	v_add_f32_e32 v41, v42, v41
	v_fmamk_f32 v42, v75, 0x3df6dbef, v43
	v_mul_f32_e32 v49, 0xbf6f5d39, v87
	v_fmamk_f32 v57, v84, 0x3e750f2a, v56
	v_add_f32_e32 v51, v51, v31
	v_add_f32_e32 v30, v48, v30
	;; [unrolled: 1-line block ×3, first 2 shown]
	v_fmamk_f32 v42, v77, 0xbeb58ec6, v49
	v_add_f32_e32 v31, v57, v40
	v_add_f32_e32 v40, v53, v51
	;; [unrolled: 1-line block ×3, first 2 shown]
	v_fmac_f32_e32 v161, 0xbe750f2a, v37
	v_add_f32_e32 v41, v42, v41
	v_mul_f32_e32 v42, 0xbf29c268, v90
	v_add_f32_e32 v40, v55, v40
	v_add_f32_e32 v30, v52, v30
	;; [unrolled: 1-line block ×3, first 2 shown]
	v_fmac_f32_e32 v163, 0x3eedf032, v74
	v_fmamk_f32 v50, v80, 0xbf3f9e67, v42
	v_mul_f32_e32 v51, 0xbe750f2a, v94
	v_add_f32_e32 v40, v45, v40
	v_add_f32_e32 v30, v54, v30
	;; [unrolled: 1-line block ×3, first 2 shown]
	v_fmac_f32_e32 v166, 0xbf29c268, v76
	v_add_f32_e32 v41, v50, v41
	v_fmamk_f32 v48, v83, 0xbf788fa5, v51
	v_add_f32_e32 v40, v47, v40
	v_add_f32_e32 v44, v44, v30
	;; [unrolled: 1-line block ×3, first 2 shown]
	v_fmac_f32_e32 v170, 0x3f52af12, v78
	v_fma_f32 v47, 0xbf788fa5, v36, -v164
	v_add_f32_e32 v30, v48, v41
	v_add_f32_e32 v41, v62, v40
	;; [unrolled: 1-line block ×4, first 2 shown]
	v_fmac_f32_e32 v171, 0xbf6f5d39, v81
	v_add_f32_e32 v45, v28, v47
	v_fma_f32 v46, 0x3f62ad3f, v73, -v169
	v_fmac_f32_e32 v86, 0xbeedf032, v37
	v_fma_f32 v36, 0x3f62ad3f, v36, -v79
	v_add_f32_e32 v37, v171, v44
	v_fmac_f32_e32 v100, 0xbf52af12, v74
	v_add_f32_e32 v44, v46, v45
	v_fma_f32 v45, 0xbf3f9e67, v75, -v172
	v_add_f32_e32 v29, v29, v86
	v_add_f32_e32 v28, v28, v36
	v_fma_f32 v36, 0x3f116cb1, v73, -v82
	v_fmac_f32_e32 v93, 0xbf7e222b, v76
	v_add_f32_e32 v44, v45, v44
	v_fma_f32 v45, 0x3f116cb1, v77, -v168
	v_add_f32_e32 v29, v100, v29
	v_add_f32_e32 v28, v36, v28
	v_fma_f32 v36, 0x3df6dbef, v75, -v43
	v_mul_f32_e32 v124, 0xbf788fa5, v80
	v_mul_f32_e32 v146, 0x3e750f2a, v81
	v_add_f32_e32 v43, v45, v44
	v_fma_f32 v44, 0xbeb58ec6, v80, -v173
	v_add_f32_e32 v29, v93, v29
	v_fmac_f32_e32 v99, 0xbf6f5d39, v78
	v_add_f32_e32 v28, v36, v28
	v_fma_f32 v36, 0xbeb58ec6, v77, -v49
	v_mul_f32_e32 v139, 0x3eedf032, v84
	v_fma_f32 v113, 0xbeb58ec6, v103, -v159
	v_sub_f32_e32 v129, v129, v146
	v_mul_f32_e32 v146, 0x3f116cb1, v83
	v_mul_f32_e32 v159, 0x3f52af12, v84
	v_add_f32_e32 v105, v119, v105
	v_add_f32_e32 v119, v124, v126
	;; [unrolled: 1-line block ×4, first 2 shown]
	v_fmac_f32_e32 v96, 0xbf29c268, v81
	v_add_f32_e32 v28, v36, v28
	v_fma_f32 v36, 0xbf3f9e67, v80, -v42
	v_mov_b32_e32 v44, 3
	v_sub_f32_e32 v101, v118, v139
	v_fmac_f32_e32 v155, 0xbeb58ec6, v83
	v_add_f32_e32 v127, v129, v127
	v_sub_f32_e32 v129, v130, v159
	v_add_f32_e32 v105, v119, v105
	v_add_f32_e32 v119, v146, v128
	v_fmac_f32_e32 v175, 0x3f7e222b, v84
	v_fma_f32 v42, 0x3df6dbef, v83, -v176
	v_add_f32_e32 v40, v61, v40
	v_add_f32_e32 v45, v96, v29
	v_fmac_f32_e32 v56, 0xbe750f2a, v84
	v_add_f32_e32 v36, v36, v28
	v_fma_f32 v46, 0xbf788fa5, v83, -v51
	v_lshlrev_b32_sdwa v44, v44, v71 dst_sel:DWORD dst_unused:UNUSED_PAD src0_sel:DWORD src1_sel:WORD_0
	v_add_f32_e32 v89, v101, v89
	v_add_f32_e32 v113, v113, v152
	;; [unrolled: 1-line block ×9, first 2 shown]
	ds_write2_b64 v44, v[40:41], v[30:31] offset1:1
	ds_write2_b64 v44, v[88:89], v[91:92] offset0:2 offset1:3
	ds_write2_b64 v44, v[105:106], v[112:113] offset0:4 offset1:5
	;; [unrolled: 1-line block ×5, first 2 shown]
	ds_write_b64 v44, v[36:37] offset:96
.LBB0_17:
	s_or_b32 exec_lo, exec_lo, s1
	s_waitcnt lgkmcnt(0)
	s_barrier
	buffer_gl0_inv
	ds_read2_b64 v[40:43], v69 offset1:52
	ds_read2_b64 v[44:47], v69 offset0:104 offset1:156
	v_add_nc_u32_e32 v28, 0x400, v69
	v_add_nc_u32_e32 v29, 0x800, v69
	ds_read2_b64 v[48:51], v28 offset0:80 offset1:132
	ds_read2_b64 v[52:55], v29 offset0:56 offset1:108
	ds_read_b64 v[30:31], v69 offset:3328
	s_waitcnt lgkmcnt(0)
	s_barrier
	buffer_gl0_inv
	v_mul_f32_e32 v36, v13, v43
	v_mul_f32_e32 v13, v13, v42
	;; [unrolled: 1-line block ×6, first 2 shown]
	v_fmac_f32_e32 v36, v12, v42
	v_fma_f32 v12, v12, v43, -v13
	v_fmac_f32_e32 v37, v14, v44
	v_fma_f32 v13, v14, v45, -v15
	;; [unrolled: 2-line block ×3, first 2 shown]
	v_mul_f32_e32 v9, v11, v49
	v_mul_f32_e32 v11, v11, v48
	;; [unrolled: 1-line block ×5, first 2 shown]
	v_fmac_f32_e32 v9, v10, v48
	v_fma_f32 v10, v10, v49, -v11
	v_fmac_f32_e32 v14, v4, v50
	v_fma_f32 v11, v4, v51, -v5
	v_mul_f32_e32 v4, v3, v31
	v_mul_f32_e32 v3, v3, v30
	;; [unrolled: 1-line block ×5, first 2 shown]
	v_fmac_f32_e32 v4, v2, v30
	v_fma_f32 v2, v2, v31, -v3
	v_fmac_f32_e32 v15, v6, v52
	v_fmac_f32_e32 v7, v0, v54
	v_fma_f32 v0, v0, v55, -v1
	v_add_f32_e32 v31, v36, v4
	v_sub_f32_e32 v42, v12, v2
	v_fma_f32 v5, v6, v53, -v5
	v_add_f32_e32 v12, v12, v2
	v_sub_f32_e32 v44, v13, v0
	v_add_f32_e32 v45, v37, v7
	v_mul_f32_e32 v2, 0x3f248dbb, v42
	v_add_f32_e32 v13, v13, v0
	v_fmamk_f32 v0, v31, 0x3f441b7d, v40
	v_sub_f32_e32 v48, v9, v14
	v_sub_f32_e32 v49, v10, v11
	v_add_f32_e32 v50, v9, v14
	v_add_f32_e32 v51, v10, v11
	v_sub_f32_e32 v30, v36, v4
	v_sub_f32_e32 v43, v37, v7
	;; [unrolled: 1-line block ×4, first 2 shown]
	v_fmac_f32_e32 v2, 0x3f7c1c5c, v44
	v_add_f32_e32 v15, v56, v15
	v_fmac_f32_e32 v0, 0x3e31d0d4, v45
	v_add_f32_e32 v8, v8, v5
	v_mul_f32_e32 v5, 0xbf248dbb, v48
	v_mul_f32_e32 v6, 0xbf248dbb, v49
	v_fmamk_f32 v3, v50, 0x3f441b7d, v40
	v_fmamk_f32 v7, v51, 0x3f441b7d, v41
	v_mul_f32_e32 v4, 0x3f248dbb, v30
	v_fmac_f32_e32 v2, 0x3f5db3d7, v47
	v_fmac_f32_e32 v0, -0.5, v15
	v_fmac_f32_e32 v5, 0x3f7c1c5c, v30
	v_fmac_f32_e32 v6, 0x3f7c1c5c, v42
	;; [unrolled: 1-line block ×9, first 2 shown]
	v_fmac_f32_e32 v3, -0.5, v15
	v_fmac_f32_e32 v7, -0.5, v8
	v_fmamk_f32 v1, v12, 0x3f441b7d, v41
	v_fmac_f32_e32 v4, 0x3f5db3d7, v46
	v_sub_f32_e32 v0, v0, v2
	v_fmac_f32_e32 v5, 0x3eaf1d44, v43
	v_fmac_f32_e32 v6, 0x3eaf1d44, v44
	;; [unrolled: 1-line block ×6, first 2 shown]
	v_fma_f32 v36, 2.0, v2, v0
	v_sub_f32_e32 v2, v3, v6
	v_add_f32_e32 v3, v5, v7
	v_add_f32_e32 v7, v48, v30
	v_mul_f32_e32 v48, 0x3f7c1c5c, v48
	v_fmac_f32_e32 v1, -0.5, v8
	v_add_f32_e32 v52, v49, v42
	v_add_f32_e32 v53, v45, v31
	v_sub_f32_e32 v54, v7, v43
	v_fma_f32 v43, 0xbf248dbb, v43, -v48
	v_add_f32_e32 v55, v13, v12
	v_mul_f32_e32 v49, 0x3f7c1c5c, v49
	v_fmamk_f32 v45, v45, 0x3f441b7d, v40
	v_fmamk_f32 v13, v13, 0x3f441b7d, v41
	v_fmac_f32_e32 v1, 0xbf708fb2, v51
	v_fmac_f32_e32 v43, 0x3f5db3d7, v46
	v_sub_f32_e32 v52, v52, v44
	v_fma_f32 v44, 0xbf248dbb, v44, -v49
	v_fmac_f32_e32 v45, 0x3e31d0d4, v50
	v_fmac_f32_e32 v13, 0x3e31d0d4, v51
	v_add_f32_e32 v1, v4, v1
	v_fmac_f32_e32 v43, 0x3eaf1d44, v30
	v_add_f32_e32 v30, v15, v53
	v_add_f32_e32 v46, v8, v55
	v_fmac_f32_e32 v44, 0x3f5db3d7, v47
	v_fmac_f32_e32 v45, -0.5, v15
	v_fmac_f32_e32 v13, -0.5, v8
	v_fma_f32 v37, -2.0, v4, v1
	v_fma_f32 v4, 2.0, v6, v2
	v_add_f32_e32 v6, v15, v40
	v_add_f32_e32 v56, v50, v53
	;; [unrolled: 1-line block ×6, first 2 shown]
	v_fmac_f32_e32 v44, 0x3eaf1d44, v42
	v_fmac_f32_e32 v45, 0xbf708fb2, v31
	;; [unrolled: 1-line block ×3, first 2 shown]
	v_fmac_f32_e32 v6, -0.5, v56
	v_fmac_f32_e32 v7, -0.5, v58
	v_add_f32_e32 v12, v14, v9
	v_add_f32_e32 v14, v11, v10
	v_sub_f32_e32 v10, v45, v44
	v_add_f32_e32 v11, v43, v13
	v_mul_f32_e32 v57, 0x3f5db3d7, v54
	v_mul_f32_e32 v56, 0x3f5db3d7, v52
	v_fmac_f32_e32 v6, 0xbf5db3d7, v52
	v_fmac_f32_e32 v7, 0x3f5db3d7, v54
	v_add_f32_e32 v12, v12, v40
	v_add_f32_e32 v13, v14, v41
	v_fma_f32 v14, 2.0, v44, v10
	v_fma_f32 v15, -2.0, v43, v11
	v_fma_f32 v5, -2.0, v5, v3
	v_fma_f32 v8, 2.0, v56, v6
	v_fma_f32 v9, -2.0, v57, v7
	ds_write2_b64 v72, v[12:13], v[0:1] offset1:13
	ds_write2_b64 v72, v[2:3], v[6:7] offset0:26 offset1:39
	ds_write2_b64 v72, v[10:11], v[14:15] offset0:52 offset1:65
	;; [unrolled: 1-line block ×3, first 2 shown]
	ds_write_b64 v72, v[36:37] offset:832
	s_waitcnt lgkmcnt(0)
	s_barrier
	buffer_gl0_inv
	ds_read2_b64 v[0:3], v69 offset1:52
	ds_read2_b64 v[12:15], v69 offset0:117 offset1:169
	ds_read2_b64 v[4:7], v28 offset0:106 offset1:158
	;; [unrolled: 1-line block ×3, first 2 shown]
	s_and_saveexec_b32 s1, s0
	s_cbranch_execz .LBB0_19
; %bb.18:
	ds_read2_b64 v[36:39], v69 offset0:104 offset1:221
	ds_read2_b64 v[32:35], v29 offset0:82 offset1:199
.LBB0_19:
	s_or_b32 exec_lo, exec_lo, s1
	s_waitcnt lgkmcnt(2)
	v_mul_f32_e32 v30, v25, v13
	v_mul_f32_e32 v25, v25, v12
	s_waitcnt lgkmcnt(1)
	v_mul_f32_e32 v31, v27, v5
	v_mul_f32_e32 v27, v27, v4
	v_fmac_f32_e32 v30, v24, v12
	v_fma_f32 v12, v24, v13, -v25
	v_fmac_f32_e32 v31, v26, v4
	s_waitcnt lgkmcnt(0)
	v_mul_f32_e32 v4, v68, v9
	v_mul_f32_e32 v13, v68, v8
	;; [unrolled: 1-line block ×4, first 2 shown]
	v_fma_f32 v5, v26, v5, -v27
	v_fmac_f32_e32 v4, v67, v8
	v_mul_f32_e32 v8, v23, v7
	v_fma_f32 v9, v67, v9, -v13
	v_fma_f32 v13, v20, v15, -v21
	v_mul_f32_e32 v21, v66, v10
	v_sub_f32_e32 v15, v30, v4
	v_fmac_f32_e32 v8, v22, v6
	v_mul_f32_e32 v4, v23, v6
	v_sub_f32_e32 v6, v12, v9
	v_mul_f32_e32 v9, v66, v11
	v_fmac_f32_e32 v24, v20, v14
	v_sub_f32_e32 v14, v0, v31
	v_fma_f32 v7, v22, v7, -v4
	v_sub_f32_e32 v20, v1, v5
	v_fmac_f32_e32 v9, v65, v10
	v_fma_f32 v10, v65, v11, -v21
	v_sub_f32_e32 v21, v2, v8
	v_sub_f32_e32 v22, v3, v7
	v_fma_f32 v5, v0, 2.0, -v14
	v_sub_f32_e32 v11, v24, v9
	v_sub_f32_e32 v10, v13, v10
	v_fma_f32 v0, v30, 2.0, -v15
	v_fma_f32 v23, v1, 2.0, -v20
	;; [unrolled: 1-line block ×7, first 2 shown]
	v_sub_f32_e32 v0, v5, v0
	v_sub_f32_e32 v1, v23, v1
	v_add_f32_e32 v6, v14, v6
	v_sub_f32_e32 v8, v12, v3
	v_sub_f32_e32 v9, v25, v9
	;; [unrolled: 1-line block ×3, first 2 shown]
	v_add_f32_e32 v10, v21, v10
	v_sub_f32_e32 v11, v22, v11
	v_fma_f32 v4, v5, 2.0, -v0
	v_fma_f32 v5, v23, 2.0, -v1
	;; [unrolled: 1-line block ×8, first 2 shown]
	ds_write2_b64 v69, v[4:5], v[12:13] offset1:52
	ds_write2_b64 v69, v[2:3], v[14:15] offset0:117 offset1:169
	ds_write2_b64 v28, v[0:1], v[8:9] offset0:106 offset1:158
	ds_write2_b64 v29, v[6:7], v[10:11] offset0:95 offset1:147
	s_and_saveexec_b32 s1, s0
	s_cbranch_execz .LBB0_21
; %bb.20:
	v_mul_f32_e32 v0, v19, v32
	v_mul_f32_e32 v1, v17, v39
	;; [unrolled: 1-line block ×6, first 2 shown]
	v_fma_f32 v0, v18, v33, -v0
	v_fmac_f32_e32 v1, v16, v38
	v_fma_f32 v3, v16, v39, -v3
	v_fma_f32 v4, v63, v35, -v4
	v_fmac_f32_e32 v2, v18, v32
	v_fmac_f32_e32 v5, v63, v34
	v_sub_f32_e32 v6, v37, v0
	v_sub_f32_e32 v0, v3, v4
	;; [unrolled: 1-line block ×4, first 2 shown]
	v_fma_f32 v7, v37, 2.0, -v6
	v_fma_f32 v3, v3, 2.0, -v0
	;; [unrolled: 1-line block ×4, first 2 shown]
	v_sub_f32_e32 v1, v6, v2
	v_add_f32_e32 v0, v4, v0
	v_sub_f32_e32 v3, v7, v3
	v_sub_f32_e32 v2, v8, v5
	v_fma_f32 v5, v6, 2.0, -v1
	v_fma_f32 v4, v4, 2.0, -v0
	v_fma_f32 v7, v7, 2.0, -v3
	v_fma_f32 v6, v8, 2.0, -v2
	v_add_nc_u32_e32 v8, 0x800, v69
	ds_write2_b64 v69, v[6:7], v[4:5] offset0:104 offset1:221
	ds_write2_b64 v8, v[2:3], v[0:1] offset0:82 offset1:199
.LBB0_21:
	s_or_b32 exec_lo, exec_lo, s1
	s_waitcnt lgkmcnt(0)
	s_barrier
	buffer_gl0_inv
	s_and_b32 exec_lo, exec_lo, vcc_lo
	s_cbranch_execz .LBB0_23
; %bb.22:
	v_add_co_u32 v0, s0, s14, v69
	v_add_co_ci_u32_e64 v1, null, s15, 0, s0
	s_clause 0x7
	global_load_dwordx2 v[24:25], v69, s[14:15]
	global_load_dwordx2 v[26:27], v69, s[14:15] offset:288
	global_load_dwordx2 v[28:29], v69, s[14:15] offset:576
	;; [unrolled: 1-line block ×7, first 2 shown]
	v_add_co_u32 v40, vcc_lo, 0x800, v0
	v_add_co_ci_u32_e32 v41, vcc_lo, 0, v1, vcc_lo
	v_mad_u64_u32 v[0:1], null, s6, v60, 0
	v_mad_u64_u32 v[2:3], null, s4, v70, 0
	s_clause 0x3
	global_load_dwordx2 v[42:43], v[40:41], off offset:256
	global_load_dwordx2 v[44:45], v[40:41], off offset:544
	;; [unrolled: 1-line block ×4, first 2 shown]
	ds_read_b64 v[50:51], v69
	v_add_nc_u32_e32 v12, 0x400, v69
	v_add_nc_u32_e32 v20, 0x800, v69
	ds_read2_b64 v[8:11], v69 offset0:180 offset1:216
	s_mul_i32 s2, s5, 0x120
	v_mad_u64_u32 v[4:5], null, s7, v60, v[1:2]
	ds_read2_b64 v[12:15], v12 offset0:124 offset1:160
	ds_read2_b64 v[16:19], v20 offset0:68 offset1:104
	;; [unrolled: 1-line block ×3, first 2 shown]
	s_mul_hi_u32 s3, s4, 0x120
	s_mulk_i32 s4, 0x120
	s_add_i32 s3, s3, s2
	v_mad_u64_u32 v[5:6], null, s5, v70, v[3:4]
	v_mov_b32_e32 v1, v4
	s_mov_b32 s0, 0x11811812
	s_mov_b32 s1, 0x3f618118
	v_lshlrev_b64 v[0:1], 3, v[0:1]
	v_mov_b32_e32 v3, v5
	ds_read2_b64 v[4:7], v69 offset0:108 offset1:144
	v_lshlrev_b64 v[2:3], 3, v[2:3]
	v_add_co_u32 v0, vcc_lo, s12, v0
	v_add_co_ci_u32_e32 v1, vcc_lo, s13, v1, vcc_lo
	v_add_co_u32 v52, vcc_lo, v0, v2
	v_add_co_ci_u32_e32 v53, vcc_lo, v1, v3, vcc_lo
	ds_read2_b64 v[0:3], v69 offset0:36 offset1:72
	v_add_co_u32 v54, vcc_lo, v52, s4
	v_add_co_ci_u32_e32 v55, vcc_lo, s3, v53, vcc_lo
	v_add_co_u32 v56, vcc_lo, v54, s4
	v_add_co_ci_u32_e32 v57, vcc_lo, s3, v55, vcc_lo
	;; [unrolled: 2-line block ×9, first 2 shown]
	s_waitcnt vmcnt(11) lgkmcnt(6)
	v_mul_f32_e32 v72, v51, v25
	s_waitcnt vmcnt(10) lgkmcnt(0)
	v_mul_f32_e32 v73, v1, v27
	v_mul_f32_e32 v25, v50, v25
	s_waitcnt vmcnt(9)
	v_mul_f32_e32 v74, v3, v29
	v_mul_f32_e32 v27, v0, v27
	s_waitcnt vmcnt(8)
	v_mul_f32_e32 v75, v5, v31
	v_mul_f32_e32 v29, v2, v29
	;; [unrolled: 1-line block ×3, first 2 shown]
	v_fmac_f32_e32 v72, v50, v24
	s_waitcnt vmcnt(7)
	v_mul_f32_e32 v76, v7, v33
	v_mul_f32_e32 v33, v6, v33
	v_fmac_f32_e32 v73, v0, v26
	s_waitcnt vmcnt(6)
	v_mul_f32_e32 v77, v9, v35
	v_mul_f32_e32 v35, v8, v35
	v_fma_f32 v24, v24, v51, -v25
	v_fmac_f32_e32 v74, v2, v28
	s_waitcnt vmcnt(5)
	v_mul_f32_e32 v78, v11, v37
	v_mul_f32_e32 v37, v10, v37
	s_waitcnt vmcnt(4)
	v_mul_f32_e32 v79, v13, v39
	v_mul_f32_e32 v39, v12, v39
	v_fma_f32 v25, v26, v1, -v27
	v_fmac_f32_e32 v75, v4, v30
	v_fma_f32 v26, v28, v3, -v29
	v_fma_f32 v27, v30, v5, -v31
	v_cvt_f64_f32_e32 v[0:1], v72
	s_waitcnt vmcnt(3)
	v_mul_f32_e32 v72, v15, v43
	v_mul_f32_e32 v43, v14, v43
	v_fmac_f32_e32 v76, v6, v32
	v_fma_f32 v28, v32, v7, -v33
	v_cvt_f64_f32_e32 v[4:5], v73
	s_waitcnt vmcnt(2)
	v_mul_f32_e32 v73, v17, v45
	v_mul_f32_e32 v45, v16, v45
	v_fmac_f32_e32 v77, v8, v34
	v_fma_f32 v32, v34, v9, -v35
	v_cvt_f64_f32_e32 v[2:3], v24
	v_cvt_f64_f32_e32 v[8:9], v74
	s_waitcnt vmcnt(1)
	v_mul_f32_e32 v74, v19, v47
	v_mul_f32_e32 v47, v18, v47
	v_fmac_f32_e32 v78, v10, v36
	v_fma_f32 v36, v36, v11, -v37
	v_fmac_f32_e32 v79, v12, v38
	v_fma_f32 v50, v38, v13, -v39
	v_cvt_f64_f32_e32 v[6:7], v25
	v_cvt_f64_f32_e32 v[12:13], v75
	s_waitcnt vmcnt(0)
	v_mul_f32_e32 v75, v21, v49
	v_mul_f32_e32 v49, v20, v49
	v_cvt_f64_f32_e32 v[10:11], v26
	v_cvt_f64_f32_e32 v[24:25], v27
	v_fmac_f32_e32 v72, v14, v42
	v_fma_f32 v42, v42, v15, -v43
	v_cvt_f64_f32_e32 v[26:27], v76
	v_cvt_f64_f32_e32 v[28:29], v28
	v_fmac_f32_e32 v73, v16, v44
	v_fma_f32 v43, v44, v17, -v45
	;; [unrolled: 4-line block ×4, first 2 shown]
	v_cvt_f64_f32_e32 v[38:39], v79
	v_cvt_f64_f32_e32 v[50:51], v50
	;; [unrolled: 1-line block ×10, first 2 shown]
	v_mul_f64 v[0:1], v[0:1], s[0:1]
	v_mul_f64 v[2:3], v[2:3], s[0:1]
	v_mul_f64 v[4:5], v[4:5], s[0:1]
	v_mul_f64 v[6:7], v[6:7], s[0:1]
	v_mul_f64 v[8:9], v[8:9], s[0:1]
	v_mul_f64 v[10:11], v[10:11], s[0:1]
	v_mul_f64 v[12:13], v[12:13], s[0:1]
	v_mul_f64 v[24:25], v[24:25], s[0:1]
	v_mul_f64 v[26:27], v[26:27], s[0:1]
	v_mul_f64 v[28:29], v[28:29], s[0:1]
	v_mul_f64 v[30:31], v[30:31], s[0:1]
	v_mul_f64 v[32:33], v[32:33], s[0:1]
	v_mul_f64 v[34:35], v[34:35], s[0:1]
	v_mul_f64 v[36:37], v[36:37], s[0:1]
	v_mul_f64 v[38:39], v[38:39], s[0:1]
	v_mul_f64 v[50:51], v[50:51], s[0:1]
	v_mul_f64 v[14:15], v[14:15], s[0:1]
	v_mul_f64 v[16:17], v[16:17], s[0:1]
	v_mul_f64 v[18:19], v[18:19], s[0:1]
	v_mul_f64 v[20:21], v[20:21], s[0:1]
	v_mul_f64 v[42:43], v[42:43], s[0:1]
	v_mul_f64 v[44:45], v[44:45], s[0:1]
	v_mul_f64 v[46:47], v[46:47], s[0:1]
	v_mul_f64 v[48:49], v[48:49], s[0:1]
	v_cvt_f32_f64_e32 v0, v[0:1]
	v_cvt_f32_f64_e32 v1, v[2:3]
	v_cvt_f32_f64_e32 v2, v[4:5]
	v_cvt_f32_f64_e32 v3, v[6:7]
	v_cvt_f32_f64_e32 v4, v[8:9]
	v_cvt_f32_f64_e32 v5, v[10:11]
	v_cvt_f32_f64_e32 v6, v[12:13]
	v_cvt_f32_f64_e32 v7, v[24:25]
	v_cvt_f32_f64_e32 v8, v[26:27]
	v_cvt_f32_f64_e32 v9, v[28:29]
	v_cvt_f32_f64_e32 v10, v[30:31]
	v_cvt_f32_f64_e32 v11, v[32:33]
	v_cvt_f32_f64_e32 v12, v[34:35]
	v_cvt_f32_f64_e32 v13, v[36:37]
	v_cvt_f32_f64_e32 v24, v[38:39]
	v_cvt_f32_f64_e32 v25, v[50:51]
	v_cvt_f32_f64_e32 v14, v[14:15]
	v_cvt_f32_f64_e32 v15, v[16:17]
	v_cvt_f32_f64_e32 v16, v[18:19]
	v_cvt_f32_f64_e32 v17, v[20:21]
	v_cvt_f32_f64_e32 v18, v[42:43]
	v_cvt_f32_f64_e32 v19, v[44:45]
	v_cvt_f32_f64_e32 v20, v[46:47]
	v_cvt_f32_f64_e32 v21, v[48:49]
	v_add_co_u32 v26, vcc_lo, v70, s4
	v_add_co_ci_u32_e32 v27, vcc_lo, s3, v71, vcc_lo
	v_add_co_u32 v28, vcc_lo, v26, s4
	v_add_co_ci_u32_e32 v29, vcc_lo, s3, v27, vcc_lo
	global_store_dwordx2 v[52:53], v[0:1], off
	global_store_dwordx2 v[54:55], v[2:3], off
	;; [unrolled: 1-line block ×12, first 2 shown]
	global_load_dwordx2 v[0:1], v[40:41], off offset:1408
	s_waitcnt vmcnt(0)
	v_mul_f32_e32 v2, v23, v1
	v_mul_f32_e32 v1, v22, v1
	v_fmac_f32_e32 v2, v22, v0
	v_fma_f32 v3, v0, v23, -v1
	v_cvt_f64_f32_e32 v[0:1], v2
	v_cvt_f64_f32_e32 v[2:3], v3
	v_mul_f64 v[0:1], v[0:1], s[0:1]
	v_mul_f64 v[2:3], v[2:3], s[0:1]
	v_cvt_f32_f64_e32 v0, v[0:1]
	v_cvt_f32_f64_e32 v1, v[2:3]
	v_add_co_u32 v2, vcc_lo, v28, s4
	v_add_co_ci_u32_e32 v3, vcc_lo, s3, v29, vcc_lo
	global_store_dwordx2 v[2:3], v[0:1], off
.LBB0_23:
	s_endpgm
	.section	.rodata,"a",@progbits
	.p2align	6, 0x0
	.amdhsa_kernel bluestein_single_back_len468_dim1_sp_op_CI_CI
		.amdhsa_group_segment_fixed_size 3744
		.amdhsa_private_segment_fixed_size 0
		.amdhsa_kernarg_size 104
		.amdhsa_user_sgpr_count 6
		.amdhsa_user_sgpr_private_segment_buffer 1
		.amdhsa_user_sgpr_dispatch_ptr 0
		.amdhsa_user_sgpr_queue_ptr 0
		.amdhsa_user_sgpr_kernarg_segment_ptr 1
		.amdhsa_user_sgpr_dispatch_id 0
		.amdhsa_user_sgpr_flat_scratch_init 0
		.amdhsa_user_sgpr_private_segment_size 0
		.amdhsa_wavefront_size32 1
		.amdhsa_uses_dynamic_stack 0
		.amdhsa_system_sgpr_private_segment_wavefront_offset 0
		.amdhsa_system_sgpr_workgroup_id_x 1
		.amdhsa_system_sgpr_workgroup_id_y 0
		.amdhsa_system_sgpr_workgroup_id_z 0
		.amdhsa_system_sgpr_workgroup_info 0
		.amdhsa_system_vgpr_workitem_id 0
		.amdhsa_next_free_vgpr 178
		.amdhsa_next_free_sgpr 16
		.amdhsa_reserve_vcc 1
		.amdhsa_reserve_flat_scratch 0
		.amdhsa_float_round_mode_32 0
		.amdhsa_float_round_mode_16_64 0
		.amdhsa_float_denorm_mode_32 3
		.amdhsa_float_denorm_mode_16_64 3
		.amdhsa_dx10_clamp 1
		.amdhsa_ieee_mode 1
		.amdhsa_fp16_overflow 0
		.amdhsa_workgroup_processor_mode 1
		.amdhsa_memory_ordered 1
		.amdhsa_forward_progress 0
		.amdhsa_shared_vgpr_count 0
		.amdhsa_exception_fp_ieee_invalid_op 0
		.amdhsa_exception_fp_denorm_src 0
		.amdhsa_exception_fp_ieee_div_zero 0
		.amdhsa_exception_fp_ieee_overflow 0
		.amdhsa_exception_fp_ieee_underflow 0
		.amdhsa_exception_fp_ieee_inexact 0
		.amdhsa_exception_int_div_zero 0
	.end_amdhsa_kernel
	.text
.Lfunc_end0:
	.size	bluestein_single_back_len468_dim1_sp_op_CI_CI, .Lfunc_end0-bluestein_single_back_len468_dim1_sp_op_CI_CI
                                        ; -- End function
	.section	.AMDGPU.csdata,"",@progbits
; Kernel info:
; codeLenInByte = 12560
; NumSgprs: 18
; NumVgprs: 178
; ScratchSize: 0
; MemoryBound: 0
; FloatMode: 240
; IeeeMode: 1
; LDSByteSize: 3744 bytes/workgroup (compile time only)
; SGPRBlocks: 2
; VGPRBlocks: 22
; NumSGPRsForWavesPerEU: 18
; NumVGPRsForWavesPerEU: 178
; Occupancy: 5
; WaveLimiterHint : 1
; COMPUTE_PGM_RSRC2:SCRATCH_EN: 0
; COMPUTE_PGM_RSRC2:USER_SGPR: 6
; COMPUTE_PGM_RSRC2:TRAP_HANDLER: 0
; COMPUTE_PGM_RSRC2:TGID_X_EN: 1
; COMPUTE_PGM_RSRC2:TGID_Y_EN: 0
; COMPUTE_PGM_RSRC2:TGID_Z_EN: 0
; COMPUTE_PGM_RSRC2:TIDIG_COMP_CNT: 0
	.text
	.p2alignl 6, 3214868480
	.fill 48, 4, 3214868480
	.type	__hip_cuid_d66c2d8639c70507,@object ; @__hip_cuid_d66c2d8639c70507
	.section	.bss,"aw",@nobits
	.globl	__hip_cuid_d66c2d8639c70507
__hip_cuid_d66c2d8639c70507:
	.byte	0                               ; 0x0
	.size	__hip_cuid_d66c2d8639c70507, 1

	.ident	"AMD clang version 19.0.0git (https://github.com/RadeonOpenCompute/llvm-project roc-6.4.0 25133 c7fe45cf4b819c5991fe208aaa96edf142730f1d)"
	.section	".note.GNU-stack","",@progbits
	.addrsig
	.addrsig_sym __hip_cuid_d66c2d8639c70507
	.amdgpu_metadata
---
amdhsa.kernels:
  - .args:
      - .actual_access:  read_only
        .address_space:  global
        .offset:         0
        .size:           8
        .value_kind:     global_buffer
      - .actual_access:  read_only
        .address_space:  global
        .offset:         8
        .size:           8
        .value_kind:     global_buffer
      - .actual_access:  read_only
        .address_space:  global
        .offset:         16
        .size:           8
        .value_kind:     global_buffer
      - .actual_access:  read_only
        .address_space:  global
        .offset:         24
        .size:           8
        .value_kind:     global_buffer
      - .actual_access:  read_only
        .address_space:  global
        .offset:         32
        .size:           8
        .value_kind:     global_buffer
      - .offset:         40
        .size:           8
        .value_kind:     by_value
      - .address_space:  global
        .offset:         48
        .size:           8
        .value_kind:     global_buffer
      - .address_space:  global
        .offset:         56
        .size:           8
        .value_kind:     global_buffer
      - .address_space:  global
        .offset:         64
        .size:           8
        .value_kind:     global_buffer
      - .address_space:  global
        .offset:         72
        .size:           8
        .value_kind:     global_buffer
      - .offset:         80
        .size:           4
        .value_kind:     by_value
      - .address_space:  global
        .offset:         88
        .size:           8
        .value_kind:     global_buffer
      - .address_space:  global
        .offset:         96
        .size:           8
        .value_kind:     global_buffer
    .group_segment_fixed_size: 3744
    .kernarg_segment_align: 8
    .kernarg_segment_size: 104
    .language:       OpenCL C
    .language_version:
      - 2
      - 0
    .max_flat_workgroup_size: 52
    .name:           bluestein_single_back_len468_dim1_sp_op_CI_CI
    .private_segment_fixed_size: 0
    .sgpr_count:     18
    .sgpr_spill_count: 0
    .symbol:         bluestein_single_back_len468_dim1_sp_op_CI_CI.kd
    .uniform_work_group_size: 1
    .uses_dynamic_stack: false
    .vgpr_count:     178
    .vgpr_spill_count: 0
    .wavefront_size: 32
    .workgroup_processor_mode: 1
amdhsa.target:   amdgcn-amd-amdhsa--gfx1030
amdhsa.version:
  - 1
  - 2
...

	.end_amdgpu_metadata
